;; amdgpu-corpus repo=pytorch/pytorch kind=compiled arch=gfx1250 opt=O3
	.amdgcn_target "amdgcn-amd-amdhsa--gfx1250"
	.amdhsa_code_object_version 6
	.section	.text._ZN2at6native12_GLOBAL__N_140max_pool3d_with_indices_single_out_frameIdEEvPKT_PS3_Pliiiiiiiiiiiiiiiiiiiiib,"axG",@progbits,_ZN2at6native12_GLOBAL__N_140max_pool3d_with_indices_single_out_frameIdEEvPKT_PS3_Pliiiiiiiiiiiiiiiiiiiiib,comdat
	.globl	_ZN2at6native12_GLOBAL__N_140max_pool3d_with_indices_single_out_frameIdEEvPKT_PS3_Pliiiiiiiiiiiiiiiiiiiiib ; -- Begin function _ZN2at6native12_GLOBAL__N_140max_pool3d_with_indices_single_out_frameIdEEvPKT_PS3_Pliiiiiiiiiiiiiiiiiiiiib
	.p2align	8
	.type	_ZN2at6native12_GLOBAL__N_140max_pool3d_with_indices_single_out_frameIdEEvPKT_PS3_Pliiiiiiiiiiiiiiiiiiiiib,@function
_ZN2at6native12_GLOBAL__N_140max_pool3d_with_indices_single_out_frameIdEEvPKT_PS3_Pliiiiiiiiiiiiiiiiiiiiib: ; @_ZN2at6native12_GLOBAL__N_140max_pool3d_with_indices_single_out_frameIdEEvPKT_PS3_Pliiiiiiiiiiiiiiiiiiiiib
; %bb.0:
	s_clause 0x3
	s_load_b64 s[2:3], s[0:1], 0x68
	s_load_b64 s[28:29], s[0:1], 0x7c
	s_load_b512 s[4:19], s[0:1], 0x18
	s_load_b128 s[20:23], s[0:1], 0x58
	s_getreg_b32 s35, hwreg(HW_REG_IB_STS2, 6, 4)
	v_bfe_u32 v1, v0, 20, 10
                                        ; implicit-def: $vgpr6_vgpr7
                                        ; implicit-def: $vgpr2_vgpr3
	s_wait_kmcnt 0x0
	s_bitcmp1_b32 s3, 0
	s_cselect_b32 s33, -1, 0
	s_bfe_u32 s3, ttmp6, 0x40014
	s_lshr_b32 s24, ttmp7, 16
	s_add_co_i32 s3, s3, 1
	s_bfe_u32 s25, ttmp6, 0x40008
	s_mul_i32 s3, s24, s3
	s_and_b32 s26, s29, 0xffff
	s_add_co_i32 s25, s25, s3
	s_cmp_eq_u32 s35, 0
	s_cselect_b32 s3, s24, s25
	s_mov_b32 s24, s9
	s_mul_i32 s3, s3, s26
	s_and_b32 vcc_lo, exec_lo, s33
	v_add3_u32 v1, s3, s2, v1
	s_mov_b32 s2, -1
	s_cbranch_vccnz .LBB0_2
; %bb.1:
	s_cvt_f32_u32 s2, s9
	s_sub_co_i32 s3, 0, s9
	v_mov_b32_e32 v7, 0
	s_delay_alu instid0(SALU_CYCLE_1) | instskip(SKIP_1) | instid1(TRANS32_DEP_1)
	v_rcp_iflag_f32_e32 v2, s2
	v_nop
	v_readfirstlane_b32 s2, v2
	s_mul_f32 s2, s2, 0x4f7ffffe
	s_delay_alu instid0(SALU_CYCLE_3) | instskip(NEXT) | instid1(SALU_CYCLE_3)
	s_cvt_u32_f32 s2, s2
	s_mul_i32 s3, s3, s2
	s_delay_alu instid0(SALU_CYCLE_1) | instskip(NEXT) | instid1(SALU_CYCLE_1)
	s_mul_hi_u32 s3, s2, s3
	s_add_co_i32 s2, s2, s3
	s_delay_alu instid0(SALU_CYCLE_1) | instskip(SKIP_1) | instid1(VALU_DEP_1)
	v_mul_hi_u32 v2, v1, s2
	s_mov_b32 s2, 0
	v_mul_lo_u32 v3, v2, s9
	s_delay_alu instid0(VALU_DEP_1) | instskip(NEXT) | instid1(VALU_DEP_1)
	v_dual_add_nc_u32 v4, 1, v2 :: v_dual_sub_nc_u32 v3, v1, v3
	v_subrev_nc_u32_e32 v5, s9, v3
	v_cmp_le_u32_e32 vcc_lo, s9, v3
	s_delay_alu instid0(VALU_DEP_2) | instskip(NEXT) | instid1(VALU_DEP_1)
	v_dual_cndmask_b32 v2, v2, v4 :: v_dual_cndmask_b32 v3, v3, v5
	v_add_nc_u32_e32 v4, 1, v2
	s_delay_alu instid0(VALU_DEP_2) | instskip(NEXT) | instid1(VALU_DEP_2)
	v_cmp_le_u32_e32 vcc_lo, s9, v3
	v_cndmask_b32_e32 v2, v2, v4, vcc_lo
	s_delay_alu instid0(VALU_DEP_1) | instskip(NEXT) | instid1(VALU_DEP_1)
	v_mul_lo_u32 v3, v2, s9
	v_dual_mov_b32 v3, v7 :: v_dual_sub_nc_u32 v6, v1, v3
.LBB0_2:
	v_dual_mov_b32 v4, 0 :: v_dual_mov_b32 v8, 0
	s_and_not1_b32 vcc_lo, exec_lo, s2
	s_cbranch_vccnz .LBB0_7
; %bb.3:
	s_cvt_f32_u32 s2, s4
	s_sub_co_i32 s3, 0, s4
	s_ashr_i32 s25, s9, 31
	s_delay_alu instid0(SALU_CYCLE_1) | instskip(SKIP_1) | instid1(TRANS32_DEP_1)
	v_rcp_iflag_f32_e32 v2, s2
	v_nop
	v_readfirstlane_b32 s2, v2
	s_mul_f32 s2, s2, 0x4f7ffffe
	s_delay_alu instid0(SALU_CYCLE_3) | instskip(NEXT) | instid1(SALU_CYCLE_3)
	s_cvt_u32_f32 s2, s2
	s_mul_i32 s3, s3, s2
	s_delay_alu instid0(SALU_CYCLE_1) | instskip(NEXT) | instid1(SALU_CYCLE_1)
	s_mul_hi_u32 s3, s2, s3
	s_add_co_i32 s2, s2, s3
	s_delay_alu instid0(SALU_CYCLE_1) | instskip(SKIP_1) | instid1(SALU_CYCLE_1)
	v_mul_hi_u32 v2, v1, s2
	s_and_b64 s[2:3], s[24:25], 0xffffffff00000000
	s_cmp_lg_u64 s[2:3], 0
	s_mov_b32 s3, 0
	s_delay_alu instid0(VALU_DEP_1) | instskip(NEXT) | instid1(VALU_DEP_1)
	v_mul_lo_u32 v3, v2, s4
	v_dual_add_nc_u32 v4, 1, v2 :: v_dual_sub_nc_u32 v3, v1, v3
	s_delay_alu instid0(VALU_DEP_1) | instskip(SKIP_1) | instid1(VALU_DEP_2)
	v_subrev_nc_u32_e32 v5, s4, v3
	v_cmp_le_u32_e32 vcc_lo, s4, v3
	v_dual_cndmask_b32 v2, v2, v4, vcc_lo :: v_dual_cndmask_b32 v4, v3, v5, vcc_lo
	s_delay_alu instid0(VALU_DEP_1) | instskip(NEXT) | instid1(VALU_DEP_2)
	v_dual_mov_b32 v3, 0 :: v_dual_add_nc_u32 v5, 1, v2
	v_cmp_le_u32_e32 vcc_lo, s4, v4
	s_delay_alu instid0(VALU_DEP_2)
	v_cndmask_b32_e32 v2, v2, v5, vcc_lo
	s_cbranch_scc0 .LBB0_12
; %bb.4:
	s_ashr_i32 s26, s25, 31
	s_delay_alu instid0(VALU_DEP_1)
	v_add_nc_u64_e32 v[4:5], 0, v[2:3]
	s_mov_b32 s27, s26
	v_mov_b32_e32 v7, v3
	s_add_nc_u64 s[30:31], s[24:25], s[26:27]
	v_mov_b32_e32 v9, v3
	s_xor_b64 s[30:31], s[30:31], s[26:27]
	v_mov_b32_e32 v13, v3
	s_cvt_f32_u32 s2, s30
	s_cvt_f32_u32 s27, s31
	s_sub_nc_u64 s[38:39], 0, s[30:31]
	v_dual_mov_b32 v6, v4 :: v_dual_mov_b32 v8, v5
	s_delay_alu instid0(SALU_CYCLE_1) | instskip(NEXT) | instid1(SALU_CYCLE_3)
	s_fmamk_f32 s2, s27, 0x4f800000, s2
	v_s_rcp_f32 s2, s2
	s_delay_alu instid0(TRANS32_DEP_1) | instskip(NEXT) | instid1(SALU_CYCLE_3)
	s_mul_f32 s2, s2, 0x5f7ffffc
	s_mul_f32 s27, s2, 0x2f800000
	s_delay_alu instid0(SALU_CYCLE_3) | instskip(NEXT) | instid1(SALU_CYCLE_3)
	s_trunc_f32 s27, s27
	s_fmamk_f32 s2, s27, 0xcf800000, s2
	s_cvt_u32_f32 s37, s27
	s_delay_alu instid0(SALU_CYCLE_2) | instskip(NEXT) | instid1(SALU_CYCLE_3)
	s_cvt_u32_f32 s36, s2
	s_mul_u64 s[40:41], s[38:39], s[36:37]
	s_delay_alu instid0(SALU_CYCLE_1)
	s_mul_hi_u32 s43, s36, s41
	s_mul_i32 s42, s36, s41
	s_mul_hi_u32 s2, s36, s40
	s_mul_i32 s29, s37, s40
	s_add_nc_u64 s[42:43], s[2:3], s[42:43]
	s_mul_hi_u32 s27, s37, s40
	s_mul_hi_u32 s34, s37, s41
	s_add_co_u32 s2, s42, s29
	s_add_co_ci_u32 s2, s43, s27
	s_mul_i32 s40, s37, s41
	s_add_co_ci_u32 s41, s34, 0
	s_delay_alu instid0(SALU_CYCLE_1) | instskip(NEXT) | instid1(SALU_CYCLE_1)
	s_add_nc_u64 s[40:41], s[2:3], s[40:41]
	s_add_co_u32 s36, s36, s40
	s_cselect_b32 s2, -1, 0
	s_delay_alu instid0(SALU_CYCLE_1) | instskip(SKIP_1) | instid1(SALU_CYCLE_1)
	s_cmp_lg_u32 s2, 0
	s_add_co_ci_u32 s37, s37, s41
	s_mul_u64 s[38:39], s[38:39], s[36:37]
	s_delay_alu instid0(SALU_CYCLE_1)
	s_mul_hi_u32 s41, s36, s39
	s_mul_i32 s40, s36, s39
	s_mul_hi_u32 s2, s36, s38
	s_mul_i32 s29, s37, s38
	s_add_nc_u64 s[40:41], s[2:3], s[40:41]
	s_mul_hi_u32 s27, s37, s38
	s_mul_hi_u32 s34, s37, s39
	s_add_co_u32 s2, s40, s29
	s_add_co_ci_u32 s2, s41, s27
	s_mul_i32 s38, s37, s39
	s_add_co_ci_u32 s39, s34, 0
	s_delay_alu instid0(SALU_CYCLE_1) | instskip(NEXT) | instid1(SALU_CYCLE_1)
	s_add_nc_u64 s[38:39], s[2:3], s[38:39]
	s_add_co_u32 s34, s36, s38
	s_cselect_b32 s2, -1, 0
	v_mul_hi_u32 v12, v4, s34
	s_cmp_lg_u32 s2, 0
	s_add_co_ci_u32 s2, s37, s39
	s_mov_b64 s[36:37], 0xffffffff
	v_mul_u64_e32 v[6:7], s[2:3], v[6:7]
	s_and_b64 s[36:37], s[34:35], s[36:37]
	s_delay_alu instid0(SALU_CYCLE_1) | instskip(SKIP_1) | instid1(VALU_DEP_3)
	v_mul_u64_e32 v[10:11], s[36:37], v[8:9]
	v_mul_u64_e32 v[8:9], s[2:3], v[8:9]
	v_add_nc_u64_e32 v[6:7], v[12:13], v[6:7]
	s_delay_alu instid0(VALU_DEP_1) | instskip(NEXT) | instid1(VALU_DEP_2)
	v_add_co_u32 v6, vcc_lo, v6, v10
	v_add_co_ci_u32_e32 v12, vcc_lo, v7, v11, vcc_lo
	s_delay_alu instid0(VALU_DEP_4) | instskip(NEXT) | instid1(VALU_DEP_1)
	v_add_co_ci_u32_e32 v9, vcc_lo, 0, v9, vcc_lo
	v_add_nc_u64_e32 v[6:7], v[12:13], v[8:9]
	s_delay_alu instid0(VALU_DEP_1) | instskip(NEXT) | instid1(VALU_DEP_1)
	v_mul_u64_e32 v[8:9], s[30:31], v[6:7]
	v_sub_nc_u32_e32 v10, v5, v9
	s_delay_alu instid0(VALU_DEP_2) | instskip(NEXT) | instid1(VALU_DEP_1)
	v_sub_co_u32 v4, vcc_lo, v4, v8
	v_sub_co_ci_u32_e64 v9, null, v5, v9, vcc_lo
	s_delay_alu instid0(VALU_DEP_3) | instskip(NEXT) | instid1(VALU_DEP_3)
	v_subrev_co_ci_u32_e64 v8, null, s31, v10, vcc_lo
	v_sub_co_u32 v12, s2, v4, s30
	v_cmp_le_u32_e32 vcc_lo, s30, v4
	s_delay_alu instid0(VALU_DEP_3) | instskip(NEXT) | instid1(VALU_DEP_3)
	v_subrev_co_ci_u32_e64 v8, null, 0, v8, s2
	v_cmp_le_u32_e64 s2, s30, v12
	v_add_nc_u64_e32 v[10:11], 2, v[6:7]
	v_cndmask_b32_e64 v14, 0, -1, vcc_lo
	s_delay_alu instid0(VALU_DEP_4) | instskip(SKIP_3) | instid1(VALU_DEP_1)
	v_cmp_eq_u32_e32 vcc_lo, s31, v8
	v_add_nc_u64_e32 v[4:5], 1, v[6:7]
	v_cndmask_b32_e64 v12, 0, -1, s2
	v_cmp_le_u32_e64 s2, s31, v8
	v_cndmask_b32_e64 v13, 0, -1, s2
	v_cmp_eq_u32_e64 s2, s31, v9
	s_delay_alu instid0(VALU_DEP_2) | instskip(SKIP_2) | instid1(VALU_DEP_3)
	v_cndmask_b32_e32 v8, v13, v12, vcc_lo
	v_cmp_le_u32_e32 vcc_lo, s31, v9
	v_cndmask_b32_e64 v12, 0, -1, vcc_lo
	v_cmp_ne_u32_e32 vcc_lo, 0, v8
	s_delay_alu instid0(VALU_DEP_2) | instskip(SKIP_1) | instid1(VALU_DEP_2)
	v_dual_cndmask_b32 v8, v12, v14, s2 :: v_dual_cndmask_b32 v5, v5, v11, vcc_lo
	v_cndmask_b32_e32 v4, v4, v10, vcc_lo
	v_cmp_ne_u32_e32 vcc_lo, 0, v8
	s_delay_alu instid0(VALU_DEP_2) | instskip(SKIP_1) | instid1(VALU_DEP_2)
	v_dual_cndmask_b32 v7, v7, v5 :: v_dual_cndmask_b32 v6, v6, v4
	v_dual_mov_b32 v5, s26 :: v_dual_mov_b32 v4, s26
	v_xor_b32_e32 v7, s26, v7
	s_delay_alu instid0(VALU_DEP_3) | instskip(NEXT) | instid1(VALU_DEP_1)
	v_xor_b32_e32 v6, s26, v6
	v_sub_nc_u64_e32 v[4:5], v[6:7], v[4:5]
	s_and_not1_b32 vcc_lo, exec_lo, s3
	s_cbranch_vccnz .LBB0_6
.LBB0_5:
	v_cvt_f32_u32_e32 v4, s24
	s_sub_co_i32 s2, 0, s24
	s_delay_alu instid0(VALU_DEP_1) | instskip(SKIP_1) | instid1(TRANS32_DEP_1)
	v_rcp_iflag_f32_e32 v4, v4
	v_nop
	v_mul_f32_e32 v4, 0x4f7ffffe, v4
	s_delay_alu instid0(VALU_DEP_1) | instskip(NEXT) | instid1(VALU_DEP_1)
	v_cvt_u32_f32_e32 v4, v4
	v_mul_lo_u32 v5, s2, v4
	s_delay_alu instid0(VALU_DEP_1) | instskip(NEXT) | instid1(VALU_DEP_1)
	v_mul_hi_u32 v5, v4, v5
	v_add_nc_u32_e32 v4, v4, v5
	s_delay_alu instid0(VALU_DEP_1) | instskip(NEXT) | instid1(VALU_DEP_1)
	v_mul_hi_u32 v4, v2, v4
	v_mul_lo_u32 v5, v4, s24
	s_delay_alu instid0(VALU_DEP_1) | instskip(NEXT) | instid1(VALU_DEP_1)
	v_dual_add_nc_u32 v6, 1, v4 :: v_dual_sub_nc_u32 v5, v2, v5
	v_subrev_nc_u32_e32 v7, s24, v5
	v_cmp_le_u32_e32 vcc_lo, s24, v5
	s_delay_alu instid0(VALU_DEP_2) | instskip(NEXT) | instid1(VALU_DEP_1)
	v_dual_cndmask_b32 v5, v5, v7 :: v_dual_cndmask_b32 v4, v4, v6
	v_cmp_le_u32_e32 vcc_lo, s24, v5
	s_delay_alu instid0(VALU_DEP_2) | instskip(NEXT) | instid1(VALU_DEP_1)
	v_dual_mov_b32 v5, 0 :: v_dual_add_nc_u32 v6, 1, v4
	v_cndmask_b32_e32 v4, v4, v6, vcc_lo
.LBB0_6:
	s_delay_alu instid0(VALU_DEP_1) | instskip(SKIP_1) | instid1(VALU_DEP_1)
	v_mul_u64_e32 v[6:7], s[24:25], v[4:5]
	v_mul_lo_u32 v5, v2, s4
	v_sub_nc_u32_e32 v8, v1, v5
	s_delay_alu instid0(VALU_DEP_3)
	v_sub_nc_u64_e32 v[6:7], v[2:3], v[6:7]
.LBB0_7:
	s_bfe_u32 s2, ttmp6, 0x40010
	s_and_b32 s3, ttmp7, 0xffff
	s_add_co_i32 s2, s2, 1
	s_bfe_u32 s25, ttmp6, 0x40004
	s_mul_i32 s2, s3, s2
	s_xor_b32 s34, s33, -1
	s_lshr_b32 s26, s28, 16
	s_add_co_i32 s25, s25, s2
	v_bfe_u32 v1, v0, 10, 10
	s_cmp_eq_u32 s35, 0
	v_mov_b32_e32 v11, 0
	s_cselect_b32 s2, s3, s25
	s_ashr_i32 s27, s10, 31
	v_mad_u32 v10, s2, s26, v1
	s_mov_b32 s26, s10
	s_mov_b32 s2, exec_lo
	s_delay_alu instid0(VALU_DEP_1)
	v_cmpx_gt_i64_e64 s[26:27], v[10:11]
	s_cbranch_execz .LBB0_33
; %bb.8:
	s_bfe_u32 s2, ttmp6, 0x4000c
	s_and_b32 s3, ttmp6, 15
	s_add_co_i32 s2, s2, 1
	s_and_b32 s10, s28, 0xffff
	s_mul_i32 s2, ttmp9, s2
	v_and_b32_e32 v0, 0x3ff, v0
	s_add_co_i32 s3, s3, s2
	s_cmp_eq_u32 s35, 0
	v_mov_b32_e32 v1, v11
	s_cselect_b32 s2, ttmp9, s3
	s_ashr_i32 s29, s11, 31
	v_mad_u32 v0, s2, s10, v0
	s_mov_b32 s28, s11
	s_delay_alu instid0(VALU_DEP_1) | instid1(SALU_CYCLE_1)
	v_cmp_gt_i64_e32 vcc_lo, s[28:29], v[0:1]
	s_and_b32 exec_lo, exec_lo, vcc_lo
	s_cbranch_execz .LBB0_33
; %bb.9:
	s_ashr_i32 s25, s9, 31
	v_cmp_gt_i32_e64 s2, s4, v8
	v_cmp_gt_i64_e32 vcc_lo, s[24:25], v[6:7]
	v_cmp_gt_i32_e64 s3, s8, v4
	s_and_b32 s2, s2, vcc_lo
	s_delay_alu instid0(SALU_CYCLE_1) | instskip(NEXT) | instid1(SALU_CYCLE_1)
	s_and_b32 s2, s2, s3
	s_and_b32 exec_lo, exec_lo, s2
	s_cbranch_execz .LBB0_33
; %bb.10:
	v_mul_lo_u32 v28, s15, v6
	s_max_u32 s15, s21, 1
	v_mul_lo_u32 v27, v10, s16
	s_cvt_f32_u32 s2, s15
	s_max_u32 s35, s22, 1
	v_mul_lo_u32 v26, v0, s17
	s_cvt_f32_u32 s17, s35
	v_rcp_iflag_f32_e32 v5, s2
	s_max_u32 s36, s23, 1
	s_load_b128 s[8:11], s[0:1], 0x0
	v_rcp_iflag_f32_e32 v9, s17
	v_subrev_nc_u32_e32 v30, s18, v28
	v_mov_b32_e32 v15, 0
	v_subrev_nc_u32_e32 v29, s19, v27
	v_readfirstlane_b32 s16, v5
	s_cvt_f32_u32 s30, s36
	v_max_i32_e32 v5, 0, v30
	v_subrev_nc_u32_e32 v31, s20, v26
	v_max_i32_e32 v12, 0, v29
	v_readfirstlane_b32 s17, v9
	v_rcp_iflag_f32_e32 v13, s30
	v_add_nc_u32_e32 v5, s18, v5
	s_mul_f32 s16, s16, 0x4f7ffffe
	v_add_nc_u32_e32 v12, s19, v12
	s_sub_co_i32 s2, 0, s15
	s_mul_f32 s17, s17, 0x4f7ffffe
	v_cmp_ne_u32_e32 vcc_lo, v5, v28
	v_readfirstlane_b32 s30, v13
	s_cvt_u32_f32 s16, s16
	s_sub_co_i32 s31, 0, s36
	s_mov_b32 s3, 0
	v_cndmask_b32_e64 v32, 0, 1, vcc_lo
	v_cmp_ne_u32_e32 vcc_lo, v12, v27
	s_mul_i32 s2, s2, s16
	s_mul_f32 s30, s30, 0x4f7ffffe
	s_mul_hi_u32 s2, s16, s2
	v_add_nc_u32_e32 v9, v28, v32
	v_cndmask_b32_e64 v33, 0, 1, vcc_lo
	s_add_co_i32 s2, s16, s2
	s_cvt_u32_f32 s16, s17
	s_cvt_u32_f32 s30, s30
	v_dual_sub_nc_u32 v14, v5, v9 :: v_dual_max_i32 v5, 0, v31
	v_add_nc_u32_e32 v9, v27, v33
	s_sub_co_i32 s17, 0, s35
	s_mul_i32 s31, s31, s30
	s_delay_alu instid0(VALU_DEP_2)
	v_dual_mov_b32 v17, v15 :: v_dual_add_nc_u32 v5, s20, v5
	s_mul_i32 s17, s17, s16
	s_mul_hi_u32 s31, s30, s31
	s_mul_hi_u32 s17, s16, s17
	s_add_co_i32 s30, s30, s31
	v_cmp_ne_u32_e32 vcc_lo, v5, v26
	s_add_co_i32 s16, s16, s17
	s_mov_b32 s17, s3
	s_mov_b32 s31, s3
	v_mov_b32_e32 v19, v15
	v_cndmask_b32_e64 v34, 0, 1, vcc_lo
	v_sub_nc_u32_e32 v16, v12, v9
	s_and_not1_b32 vcc_lo, exec_lo, s34
	s_delay_alu instid0(VALU_DEP_2) | instskip(NEXT) | instid1(VALU_DEP_1)
	v_add_nc_u32_e32 v9, v26, v34
	v_sub_nc_u32_e32 v18, v5, v9
	s_cbranch_vccnz .LBB0_13
; %bb.11:
	s_ashr_i32 s39, s5, 31
	s_mov_b32 s38, s5
	s_ashr_i32 s41, s6, 31
	s_mov_b32 s40, s6
	;; [unrolled: 2-line block ×3, first 2 shown]
	s_mul_u64 s[38:39], s[40:41], s[38:39]
	s_mov_b32 s37, s3
	s_mul_u64 s[38:39], s[38:39], s[42:43]
	s_delay_alu instid0(SALU_CYCLE_1) | instskip(SKIP_1) | instid1(VALU_DEP_1)
	v_mul_u64_e32 v[12:13], s[38:39], v[2:3]
	s_wait_kmcnt 0x0
	v_lshl_add_u64 v[12:13], v[12:13], 3, s[8:9]
	s_branch .LBB0_14
.LBB0_12:
                                        ; implicit-def: $vgpr4_vgpr5
	s_branch .LBB0_5
.LBB0_13:
	s_mov_b32 s37, -1
                                        ; implicit-def: $vgpr12_vgpr13
.LBB0_14:
	v_mul_u64_e32 v[24:25], s[2:3], v[14:15]
	v_mul_u64_e32 v[22:23], s[16:17], v[16:17]
	;; [unrolled: 1-line block ×3, first 2 shown]
	s_load_b64 s[16:17], s[0:1], 0x10
	v_ashrrev_i32_e32 v9, 31, v8
	s_and_not1_b32 vcc_lo, exec_lo, s37
	s_cbranch_vccnz .LBB0_16
; %bb.15:
	s_wait_xcnt 0x0
	s_ashr_i32 s1, s5, 31
	s_mov_b32 s0, s5
	s_ashr_i32 s31, s4, 31
	s_mov_b32 s30, s4
	;; [unrolled: 2-line block ×3, first 2 shown]
	s_mul_u64 s[0:1], s[0:1], s[30:31]
	v_ashrrev_i32_e32 v5, 31, v4
	s_ashr_i32 s39, s7, 31
	s_mov_b32 s38, s7
	s_mul_u64 s[0:1], s[0:1], s[2:3]
	s_delay_alu instid0(SALU_CYCLE_1) | instskip(NEXT) | instid1(SALU_CYCLE_1)
	s_mul_u64 s[0:1], s[0:1], s[38:39]
	v_mul_u64_e32 v[12:13], s[0:1], v[4:5]
	s_wait_kmcnt 0x0
	s_delay_alu instid0(VALU_DEP_1) | instskip(NEXT) | instid1(VALU_DEP_1)
	v_lshl_add_u64 v[12:13], v[12:13], 3, s[8:9]
	v_lshl_add_u64 v[12:13], v[8:9], 3, v[12:13]
.LBB0_16:
	s_delay_alu instid0(VALU_DEP_4) | instskip(NEXT) | instid1(VALU_DEP_4)
	v_mul_lo_u32 v5, v25, s15
	v_mul_lo_u32 v15, v23, s35
	s_delay_alu instid0(VALU_DEP_4) | instskip(SKIP_1) | instid1(VALU_DEP_3)
	v_mul_lo_u32 v17, v21, s36
	v_add_nc_u32_e32 v19, 1, v25
	v_dual_sub_nc_u32 v5, v14, v5 :: v_dual_sub_nc_u32 v15, v16, v15
	v_add_nc_u32_e32 v14, 1, v23
	s_delay_alu instid0(VALU_DEP_2) | instskip(SKIP_1) | instid1(VALU_DEP_3)
	v_cmp_le_u32_e32 vcc_lo, s15, v5
	s_wait_xcnt 0x0
	v_cmp_le_u32_e64 s0, s35, v15
	v_sub_nc_u32_e32 v16, v18, v17
	v_subrev_nc_u32_e32 v17, s15, v5
	v_dual_add_nc_u32 v20, 1, v21 :: v_dual_cndmask_b32 v18, v25, v19, vcc_lo
	s_delay_alu instid0(VALU_DEP_4) | instskip(SKIP_1) | instid1(VALU_DEP_4)
	v_cndmask_b32_e64 v14, v23, v14, s0
	v_subrev_nc_u32_e32 v19, s35, v15
	v_cndmask_b32_e32 v5, v5, v17, vcc_lo
	v_cmp_le_u32_e32 vcc_lo, s36, v16
	s_delay_alu instid0(VALU_DEP_3) | instskip(NEXT) | instid1(VALU_DEP_3)
	v_dual_add_nc_u32 v17, 1, v18 :: v_dual_cndmask_b32 v15, v15, v19, s0
	v_cmp_le_u32_e64 s1, s15, v5
	v_cndmask_b32_e32 v20, v21, v20, vcc_lo
	v_subrev_nc_u32_e32 v21, s36, v16
	s_add_co_i32 s0, s12, -1
	v_dual_cndmask_b32 v5, v18, v17, s1 :: v_dual_add_nc_u32 v17, 1, v14
	s_delay_alu instid0(VALU_DEP_2) | instskip(SKIP_1) | instid1(VALU_DEP_3)
	v_dual_cndmask_b32 v16, v16, v21, vcc_lo :: v_dual_add_nc_u32 v18, 1, v20
	v_cmp_le_u32_e32 vcc_lo, s35, v15
	v_add_nc_u32_e32 v5, v5, v32
	s_mul_i32 s0, s21, s0
	s_delay_alu instid0(SALU_CYCLE_1)
	s_add_co_i32 s0, s0, 1
	v_cndmask_b32_e32 v14, v14, v17, vcc_lo
	v_cmp_le_u32_e32 vcc_lo, s36, v16
	v_mad_u32 v5, s21, v5, v28
	v_mov_b64_e32 v[16:17], 0xfff0000000000000
	v_add_min_i32_e64 v28, s0, v30, s5
	v_dual_cndmask_b32 v15, v20, v18 :: v_dual_add_nc_u32 v14, v14, v33
	s_mov_b32 s5, exec_lo
	s_delay_alu instid0(VALU_DEP_1) | instskip(SKIP_1) | instid1(VALU_DEP_1)
	v_mul_lo_u32 v19, s22, v14
	v_subrev_nc_u32_e32 v5, s18, v5
	v_mul_lo_u32 v20, v5, s6
	s_delay_alu instid0(VALU_DEP_3) | instskip(NEXT) | instid1(VALU_DEP_1)
	v_add_nc_u32_e32 v14, v19, v27
	v_subrev_nc_u32_e32 v24, s19, v14
	s_delay_alu instid0(VALU_DEP_1) | instskip(NEXT) | instid1(VALU_DEP_1)
	v_dual_add_nc_u32 v15, v15, v34 :: v_dual_add_nc_u32 v14, v24, v20
	v_mul_lo_u32 v18, s23, v15
	s_delay_alu instid0(VALU_DEP_1) | instskip(NEXT) | instid1(VALU_DEP_1)
	v_add_nc_u32_e32 v15, v18, v26
	v_subrev_nc_u32_e32 v25, s20, v15
	s_delay_alu instid0(VALU_DEP_1) | instskip(NEXT) | instid1(VALU_DEP_1)
	v_mad_u32 v14, v14, s7, v25
	v_ashrrev_i32_e32 v15, 31, v14
	v_cmpx_lt_i32_e64 v5, v28
	s_cbranch_execz .LBB0_28
; %bb.17:
	v_add3_u32 v16, v20, v27, v19
	s_add_co_i32 s0, s13, -1
	s_add_co_i32 s1, s14, -1
	s_mul_i32 s0, s22, s0
	s_mul_i32 s1, s23, s1
	v_subrev_nc_u32_e32 v16, s19, v16
	s_add_co_i32 s0, s0, 1
	s_add_co_i32 s1, s1, 1
	s_wait_kmcnt 0x0
	s_mul_i32 s8, s21, s7
	s_mul_i32 s12, s22, s7
	v_mul_lo_u32 v16, s7, v16
	s_mul_i32 s8, s8, s6
	s_mov_b32 s15, 0
	s_delay_alu instid0(VALU_DEP_1)
	v_add3_u32 v16, v16, v26, v18
	v_add_min_i32_e64 v26, s0, v29, s6
	s_and_b32 s0, exec_lo, s33
	s_cselect_b32 s14, s4, 1
	v_add_min_i32_e64 v29, s1, v31, s7
	v_subrev_nc_u32_e32 v27, s20, v16
	v_mov_b64_e32 v[16:17], 0xfff0000000000000
	s_mul_i32 s9, s8, s14
	s_mul_i32 s13, s12, s14
	v_cmp_lt_i32_e64 s0, v25, v29
	v_mul_lo_u32 v30, s14, v27
	s_mul_i32 s14, s14, s23
	s_ashr_i32 s7, s23, 31
	s_mov_b32 s6, s23
	v_cmp_lt_i32_e32 vcc_lo, v24, v26
	s_branch .LBB0_20
.LBB0_18:                               ;   in Loop: Header=BB0_20 Depth=1
	s_or_b32 exec_lo, exec_lo, s19
.LBB0_19:                               ;   in Loop: Header=BB0_20 Depth=1
	s_delay_alu instid0(SALU_CYCLE_1) | instskip(NEXT) | instid1(VALU_DEP_2)
	s_or_b32 exec_lo, exec_lo, s18
	v_dual_add_nc_u32 v5, s21, v5 :: v_dual_add_nc_u32 v30, s9, v30
	v_add_nc_u32_e32 v27, s8, v27
	s_delay_alu instid0(VALU_DEP_2) | instskip(SKIP_1) | instid1(SALU_CYCLE_1)
	v_cmp_ge_i32_e64 s1, v5, v28
	s_or_b32 s15, s1, s15
	s_and_not1_b32 exec_lo, exec_lo, s15
	s_cbranch_execz .LBB0_27
.LBB0_20:                               ; =>This Loop Header: Depth=1
                                        ;     Child Loop BB0_23 Depth 2
                                        ;       Child Loop BB0_25 Depth 3
	s_and_saveexec_b32 s18, vcc_lo
	s_cbranch_execz .LBB0_19
; %bb.21:                               ;   in Loop: Header=BB0_20 Depth=1
	s_delay_alu instid0(VALU_DEP_2)
	v_dual_mov_b32 v18, v27 :: v_dual_mov_b32 v31, v30
	v_mov_b32_e32 v32, v24
	s_mov_b32 s19, 0
	s_branch .LBB0_23
.LBB0_22:                               ;   in Loop: Header=BB0_23 Depth=2
	s_or_b32 exec_lo, exec_lo, s20
	v_dual_add_nc_u32 v32, s22, v32 :: v_dual_add_nc_u32 v31, s13, v31
	v_add_nc_u32_e32 v18, s12, v18
	s_delay_alu instid0(VALU_DEP_2) | instskip(SKIP_1) | instid1(SALU_CYCLE_1)
	v_cmp_ge_i32_e64 s1, v32, v26
	s_or_b32 s19, s1, s19
	s_and_not1_b32 exec_lo, exec_lo, s19
	s_cbranch_execz .LBB0_18
.LBB0_23:                               ;   Parent Loop BB0_20 Depth=1
                                        ; =>  This Loop Header: Depth=2
                                        ;       Child Loop BB0_25 Depth 3
	s_delay_alu instid0(VALU_DEP_2)
	v_ashrrev_i32_e32 v19, 31, v18
	s_and_saveexec_b32 s20, s0
	s_cbranch_execz .LBB0_22
; %bb.24:                               ;   in Loop: Header=BB0_23 Depth=2
	s_delay_alu instid0(VALU_DEP_1)
	v_mov_b64_e32 v[20:21], v[18:19]
	v_dual_mov_b32 v22, v31 :: v_dual_mov_b32 v19, v25
	s_mov_b32 s30, 0
.LBB0_25:                               ;   Parent Loop BB0_20 Depth=1
                                        ;     Parent Loop BB0_23 Depth=2
                                        ; =>    This Inner Loop Header: Depth=3
	s_delay_alu instid0(VALU_DEP_1) | instskip(NEXT) | instid1(VALU_DEP_1)
	v_dual_ashrrev_i32 v23, 31, v22 :: v_dual_add_nc_u32 v19, s23, v19
	v_lshl_add_u64 v[34:35], v[22:23], 3, v[12:13]
	s_delay_alu instid0(VALU_DEP_2)
	v_cmp_ge_i32_e64 s3, v19, v29
	global_load_b64 v[34:35], v[34:35], off
	s_wait_loadcnt 0x0
	v_cmp_lt_f64_e64 s1, v[16:17], v[34:35]
	v_cmp_u_f64_e64 s2, v[34:35], v[34:35]
	s_or_b32 s1, s1, s2
	s_delay_alu instid0(SALU_CYCLE_1) | instskip(SKIP_4) | instid1(SALU_CYCLE_1)
	v_dual_add_nc_u32 v22, s14, v22 :: v_dual_cndmask_b32 v15, v15, v21, s1
	v_dual_cndmask_b32 v14, v14, v20, s1 :: v_dual_cndmask_b32 v17, v17, v35, s1
	v_add_nc_u64_e32 v[20:21], s[6:7], v[20:21]
	v_cndmask_b32_e64 v16, v16, v34, s1
	s_or_b32 s30, s3, s30
	s_and_not1_b32 exec_lo, exec_lo, s30
	s_cbranch_execnz .LBB0_25
; %bb.26:                               ;   in Loop: Header=BB0_23 Depth=2
	s_or_b32 exec_lo, exec_lo, s30
	s_branch .LBB0_22
.LBB0_27:
	s_or_b32 exec_lo, exec_lo, s15
.LBB0_28:
	s_delay_alu instid0(SALU_CYCLE_1) | instskip(NEXT) | instid1(SALU_CYCLE_1)
	s_or_b32 exec_lo, exec_lo, s5
	s_and_b32 vcc_lo, exec_lo, s34
	s_cbranch_vccz .LBB0_30
; %bb.29:
	v_mad_nc_u64_u32 v[12:13], v2, s24, v[6:7]
	s_delay_alu instid0(VALU_DEP_1) | instskip(NEXT) | instid1(VALU_DEP_2)
	v_mad_u32 v3, v3, s24, v13
	v_mad_nc_u64_u32 v[18:19], v12, s26, v[10:11]
	s_delay_alu instid0(VALU_DEP_2) | instskip(NEXT) | instid1(VALU_DEP_1)
	v_mad_u32 v2, v2, s25, v3
	v_mad_u32 v2, v2, s26, v19
	s_delay_alu instid0(VALU_DEP_1) | instskip(NEXT) | instid1(VALU_DEP_4)
	v_mad_u32 v5, v12, s27, v2
	v_mad_nc_u64_u32 v[2:3], v18, s28, v[0:1]
	s_delay_alu instid0(VALU_DEP_1) | instskip(NEXT) | instid1(VALU_DEP_1)
	v_mad_u32 v3, v5, s28, v3
	v_mad_u32 v3, v18, s29, v3
	s_cbranch_execz .LBB0_31
	s_branch .LBB0_32
.LBB0_30:
                                        ; implicit-def: $vgpr2_vgpr3
.LBB0_31:
	v_mad_nc_i64_i32 v[2:3], v4, s24, v[6:7]
	s_ashr_i32 s0, s4, 31
	s_delay_alu instid0(VALU_DEP_1) | instskip(NEXT) | instid1(VALU_DEP_1)
	v_mad_nc_u64_u32 v[4:5], v2, s26, v[10:11]
	v_mad_u32 v3, v3, s26, v5
	s_delay_alu instid0(VALU_DEP_2) | instskip(NEXT) | instid1(VALU_DEP_2)
	v_mad_nc_u64_u32 v[0:1], v4, s28, v[0:1]
	v_mad_u32 v2, v2, s27, v3
	s_delay_alu instid0(VALU_DEP_1) | instskip(NEXT) | instid1(VALU_DEP_3)
	v_mad_u32 v1, v2, s28, v1
	v_mad_nc_u64_u32 v[2:3], v0, s4, v[8:9]
	s_delay_alu instid0(VALU_DEP_2) | instskip(NEXT) | instid1(VALU_DEP_1)
	v_mad_u32 v1, v4, s29, v1
	v_mad_u32 v1, v1, s4, v3
	s_delay_alu instid0(VALU_DEP_1)
	v_mad_u32 v3, v0, s0, v1
.LBB0_32:
	s_delay_alu instid0(VALU_DEP_1) | instskip(SKIP_1) | instid1(VALU_DEP_1)
	v_lshlrev_b64_e32 v[0:1], 3, v[2:3]
	s_wait_kmcnt 0x0
	v_add_nc_u64_e32 v[2:3], s[10:11], v[0:1]
	v_add_nc_u64_e32 v[0:1], s[16:17], v[0:1]
	global_store_b64 v[2:3], v[16:17], off
	global_store_b64 v[0:1], v[14:15], off
.LBB0_33:
	s_endpgm
	.section	.rodata,"a",@progbits
	.p2align	6, 0x0
	.amdhsa_kernel _ZN2at6native12_GLOBAL__N_140max_pool3d_with_indices_single_out_frameIdEEvPKT_PS3_Pliiiiiiiiiiiiiiiiiiiiib
		.amdhsa_group_segment_fixed_size 0
		.amdhsa_private_segment_fixed_size 0
		.amdhsa_kernarg_size 368
		.amdhsa_user_sgpr_count 2
		.amdhsa_user_sgpr_dispatch_ptr 0
		.amdhsa_user_sgpr_queue_ptr 0
		.amdhsa_user_sgpr_kernarg_segment_ptr 1
		.amdhsa_user_sgpr_dispatch_id 0
		.amdhsa_user_sgpr_kernarg_preload_length 0
		.amdhsa_user_sgpr_kernarg_preload_offset 0
		.amdhsa_user_sgpr_private_segment_size 0
		.amdhsa_wavefront_size32 1
		.amdhsa_uses_dynamic_stack 0
		.amdhsa_enable_private_segment 0
		.amdhsa_system_sgpr_workgroup_id_x 1
		.amdhsa_system_sgpr_workgroup_id_y 1
		.amdhsa_system_sgpr_workgroup_id_z 1
		.amdhsa_system_sgpr_workgroup_info 0
		.amdhsa_system_vgpr_workitem_id 2
		.amdhsa_next_free_vgpr 36
		.amdhsa_next_free_sgpr 44
		.amdhsa_named_barrier_count 0
		.amdhsa_reserve_vcc 1
		.amdhsa_float_round_mode_32 0
		.amdhsa_float_round_mode_16_64 0
		.amdhsa_float_denorm_mode_32 3
		.amdhsa_float_denorm_mode_16_64 3
		.amdhsa_fp16_overflow 0
		.amdhsa_memory_ordered 1
		.amdhsa_forward_progress 1
		.amdhsa_inst_pref_size 24
		.amdhsa_round_robin_scheduling 0
		.amdhsa_exception_fp_ieee_invalid_op 0
		.amdhsa_exception_fp_denorm_src 0
		.amdhsa_exception_fp_ieee_div_zero 0
		.amdhsa_exception_fp_ieee_overflow 0
		.amdhsa_exception_fp_ieee_underflow 0
		.amdhsa_exception_fp_ieee_inexact 0
		.amdhsa_exception_int_div_zero 0
	.end_amdhsa_kernel
	.section	.text._ZN2at6native12_GLOBAL__N_140max_pool3d_with_indices_single_out_frameIdEEvPKT_PS3_Pliiiiiiiiiiiiiiiiiiiiib,"axG",@progbits,_ZN2at6native12_GLOBAL__N_140max_pool3d_with_indices_single_out_frameIdEEvPKT_PS3_Pliiiiiiiiiiiiiiiiiiiiib,comdat
.Lfunc_end0:
	.size	_ZN2at6native12_GLOBAL__N_140max_pool3d_with_indices_single_out_frameIdEEvPKT_PS3_Pliiiiiiiiiiiiiiiiiiiiib, .Lfunc_end0-_ZN2at6native12_GLOBAL__N_140max_pool3d_with_indices_single_out_frameIdEEvPKT_PS3_Pliiiiiiiiiiiiiiiiiiiiib
                                        ; -- End function
	.set _ZN2at6native12_GLOBAL__N_140max_pool3d_with_indices_single_out_frameIdEEvPKT_PS3_Pliiiiiiiiiiiiiiiiiiiiib.num_vgpr, 36
	.set _ZN2at6native12_GLOBAL__N_140max_pool3d_with_indices_single_out_frameIdEEvPKT_PS3_Pliiiiiiiiiiiiiiiiiiiiib.num_agpr, 0
	.set _ZN2at6native12_GLOBAL__N_140max_pool3d_with_indices_single_out_frameIdEEvPKT_PS3_Pliiiiiiiiiiiiiiiiiiiiib.numbered_sgpr, 44
	.set _ZN2at6native12_GLOBAL__N_140max_pool3d_with_indices_single_out_frameIdEEvPKT_PS3_Pliiiiiiiiiiiiiiiiiiiiib.num_named_barrier, 0
	.set _ZN2at6native12_GLOBAL__N_140max_pool3d_with_indices_single_out_frameIdEEvPKT_PS3_Pliiiiiiiiiiiiiiiiiiiiib.private_seg_size, 0
	.set _ZN2at6native12_GLOBAL__N_140max_pool3d_with_indices_single_out_frameIdEEvPKT_PS3_Pliiiiiiiiiiiiiiiiiiiiib.uses_vcc, 1
	.set _ZN2at6native12_GLOBAL__N_140max_pool3d_with_indices_single_out_frameIdEEvPKT_PS3_Pliiiiiiiiiiiiiiiiiiiiib.uses_flat_scratch, 0
	.set _ZN2at6native12_GLOBAL__N_140max_pool3d_with_indices_single_out_frameIdEEvPKT_PS3_Pliiiiiiiiiiiiiiiiiiiiib.has_dyn_sized_stack, 0
	.set _ZN2at6native12_GLOBAL__N_140max_pool3d_with_indices_single_out_frameIdEEvPKT_PS3_Pliiiiiiiiiiiiiiiiiiiiib.has_recursion, 0
	.set _ZN2at6native12_GLOBAL__N_140max_pool3d_with_indices_single_out_frameIdEEvPKT_PS3_Pliiiiiiiiiiiiiiiiiiiiib.has_indirect_call, 0
	.section	.AMDGPU.csdata,"",@progbits
; Kernel info:
; codeLenInByte = 3016
; TotalNumSgprs: 46
; NumVgprs: 36
; ScratchSize: 0
; MemoryBound: 0
; FloatMode: 240
; IeeeMode: 1
; LDSByteSize: 0 bytes/workgroup (compile time only)
; SGPRBlocks: 0
; VGPRBlocks: 2
; NumSGPRsForWavesPerEU: 46
; NumVGPRsForWavesPerEU: 36
; NamedBarCnt: 0
; Occupancy: 16
; WaveLimiterHint : 0
; COMPUTE_PGM_RSRC2:SCRATCH_EN: 0
; COMPUTE_PGM_RSRC2:USER_SGPR: 2
; COMPUTE_PGM_RSRC2:TRAP_HANDLER: 0
; COMPUTE_PGM_RSRC2:TGID_X_EN: 1
; COMPUTE_PGM_RSRC2:TGID_Y_EN: 1
; COMPUTE_PGM_RSRC2:TGID_Z_EN: 1
; COMPUTE_PGM_RSRC2:TIDIG_COMP_CNT: 2
	.section	.text._ZN2at6native12_GLOBAL__N_140max_pool3d_with_indices_single_out_frameIfEEvPKT_PS3_Pliiiiiiiiiiiiiiiiiiiiib,"axG",@progbits,_ZN2at6native12_GLOBAL__N_140max_pool3d_with_indices_single_out_frameIfEEvPKT_PS3_Pliiiiiiiiiiiiiiiiiiiiib,comdat
	.globl	_ZN2at6native12_GLOBAL__N_140max_pool3d_with_indices_single_out_frameIfEEvPKT_PS3_Pliiiiiiiiiiiiiiiiiiiiib ; -- Begin function _ZN2at6native12_GLOBAL__N_140max_pool3d_with_indices_single_out_frameIfEEvPKT_PS3_Pliiiiiiiiiiiiiiiiiiiiib
	.p2align	8
	.type	_ZN2at6native12_GLOBAL__N_140max_pool3d_with_indices_single_out_frameIfEEvPKT_PS3_Pliiiiiiiiiiiiiiiiiiiiib,@function
_ZN2at6native12_GLOBAL__N_140max_pool3d_with_indices_single_out_frameIfEEvPKT_PS3_Pliiiiiiiiiiiiiiiiiiiiib: ; @_ZN2at6native12_GLOBAL__N_140max_pool3d_with_indices_single_out_frameIfEEvPKT_PS3_Pliiiiiiiiiiiiiiiiiiiiib
; %bb.0:
	s_clause 0x3
	s_load_b64 s[2:3], s[0:1], 0x68
	s_load_b64 s[28:29], s[0:1], 0x7c
	s_load_b512 s[4:19], s[0:1], 0x18
	s_load_b128 s[20:23], s[0:1], 0x58
	s_getreg_b32 s35, hwreg(HW_REG_IB_STS2, 6, 4)
	v_bfe_u32 v1, v0, 20, 10
                                        ; implicit-def: $vgpr6_vgpr7
                                        ; implicit-def: $vgpr2_vgpr3
	s_wait_kmcnt 0x0
	s_bitcmp1_b32 s3, 0
	s_cselect_b32 s33, -1, 0
	s_bfe_u32 s3, ttmp6, 0x40014
	s_lshr_b32 s24, ttmp7, 16
	s_add_co_i32 s3, s3, 1
	s_bfe_u32 s25, ttmp6, 0x40008
	s_mul_i32 s3, s24, s3
	s_and_b32 s26, s29, 0xffff
	s_add_co_i32 s25, s25, s3
	s_cmp_eq_u32 s35, 0
	s_cselect_b32 s3, s24, s25
	s_mov_b32 s24, s9
	s_mul_i32 s3, s3, s26
	s_and_b32 vcc_lo, exec_lo, s33
	v_add3_u32 v1, s3, s2, v1
	s_mov_b32 s2, -1
	s_cbranch_vccnz .LBB1_2
; %bb.1:
	s_cvt_f32_u32 s2, s9
	s_sub_co_i32 s3, 0, s9
	v_mov_b32_e32 v7, 0
	s_delay_alu instid0(SALU_CYCLE_1) | instskip(SKIP_1) | instid1(TRANS32_DEP_1)
	v_rcp_iflag_f32_e32 v2, s2
	v_nop
	v_readfirstlane_b32 s2, v2
	s_mul_f32 s2, s2, 0x4f7ffffe
	s_delay_alu instid0(SALU_CYCLE_3) | instskip(NEXT) | instid1(SALU_CYCLE_3)
	s_cvt_u32_f32 s2, s2
	s_mul_i32 s3, s3, s2
	s_delay_alu instid0(SALU_CYCLE_1) | instskip(NEXT) | instid1(SALU_CYCLE_1)
	s_mul_hi_u32 s3, s2, s3
	s_add_co_i32 s2, s2, s3
	s_delay_alu instid0(SALU_CYCLE_1) | instskip(SKIP_1) | instid1(VALU_DEP_1)
	v_mul_hi_u32 v2, v1, s2
	s_mov_b32 s2, 0
	v_mul_lo_u32 v3, v2, s9
	s_delay_alu instid0(VALU_DEP_1) | instskip(NEXT) | instid1(VALU_DEP_1)
	v_dual_add_nc_u32 v4, 1, v2 :: v_dual_sub_nc_u32 v3, v1, v3
	v_subrev_nc_u32_e32 v5, s9, v3
	v_cmp_le_u32_e32 vcc_lo, s9, v3
	s_delay_alu instid0(VALU_DEP_2) | instskip(NEXT) | instid1(VALU_DEP_1)
	v_dual_cndmask_b32 v2, v2, v4 :: v_dual_cndmask_b32 v3, v3, v5
	v_add_nc_u32_e32 v4, 1, v2
	s_delay_alu instid0(VALU_DEP_2) | instskip(NEXT) | instid1(VALU_DEP_2)
	v_cmp_le_u32_e32 vcc_lo, s9, v3
	v_cndmask_b32_e32 v2, v2, v4, vcc_lo
	s_delay_alu instid0(VALU_DEP_1) | instskip(NEXT) | instid1(VALU_DEP_1)
	v_mul_lo_u32 v3, v2, s9
	v_dual_mov_b32 v3, v7 :: v_dual_sub_nc_u32 v6, v1, v3
.LBB1_2:
	v_dual_mov_b32 v4, 0 :: v_dual_mov_b32 v8, 0
	s_and_not1_b32 vcc_lo, exec_lo, s2
	s_cbranch_vccnz .LBB1_7
; %bb.3:
	s_cvt_f32_u32 s2, s4
	s_sub_co_i32 s3, 0, s4
	s_ashr_i32 s25, s9, 31
	s_delay_alu instid0(SALU_CYCLE_1) | instskip(SKIP_1) | instid1(TRANS32_DEP_1)
	v_rcp_iflag_f32_e32 v2, s2
	v_nop
	v_readfirstlane_b32 s2, v2
	s_mul_f32 s2, s2, 0x4f7ffffe
	s_delay_alu instid0(SALU_CYCLE_3) | instskip(NEXT) | instid1(SALU_CYCLE_3)
	s_cvt_u32_f32 s2, s2
	s_mul_i32 s3, s3, s2
	s_delay_alu instid0(SALU_CYCLE_1) | instskip(NEXT) | instid1(SALU_CYCLE_1)
	s_mul_hi_u32 s3, s2, s3
	s_add_co_i32 s2, s2, s3
	s_delay_alu instid0(SALU_CYCLE_1) | instskip(SKIP_1) | instid1(SALU_CYCLE_1)
	v_mul_hi_u32 v2, v1, s2
	s_and_b64 s[2:3], s[24:25], 0xffffffff00000000
	s_cmp_lg_u64 s[2:3], 0
	s_mov_b32 s3, 0
	s_delay_alu instid0(VALU_DEP_1) | instskip(NEXT) | instid1(VALU_DEP_1)
	v_mul_lo_u32 v3, v2, s4
	v_dual_add_nc_u32 v4, 1, v2 :: v_dual_sub_nc_u32 v3, v1, v3
	s_delay_alu instid0(VALU_DEP_1) | instskip(SKIP_1) | instid1(VALU_DEP_2)
	v_subrev_nc_u32_e32 v5, s4, v3
	v_cmp_le_u32_e32 vcc_lo, s4, v3
	v_dual_cndmask_b32 v2, v2, v4, vcc_lo :: v_dual_cndmask_b32 v4, v3, v5, vcc_lo
	s_delay_alu instid0(VALU_DEP_1) | instskip(NEXT) | instid1(VALU_DEP_2)
	v_dual_mov_b32 v3, 0 :: v_dual_add_nc_u32 v5, 1, v2
	v_cmp_le_u32_e32 vcc_lo, s4, v4
	s_delay_alu instid0(VALU_DEP_2)
	v_cndmask_b32_e32 v2, v2, v5, vcc_lo
	s_cbranch_scc0 .LBB1_12
; %bb.4:
	s_ashr_i32 s26, s25, 31
	s_delay_alu instid0(VALU_DEP_1)
	v_add_nc_u64_e32 v[4:5], 0, v[2:3]
	s_mov_b32 s27, s26
	v_mov_b32_e32 v7, v3
	s_add_nc_u64 s[30:31], s[24:25], s[26:27]
	v_mov_b32_e32 v9, v3
	s_xor_b64 s[30:31], s[30:31], s[26:27]
	v_mov_b32_e32 v13, v3
	s_cvt_f32_u32 s2, s30
	s_cvt_f32_u32 s27, s31
	s_sub_nc_u64 s[38:39], 0, s[30:31]
	v_dual_mov_b32 v6, v4 :: v_dual_mov_b32 v8, v5
	s_delay_alu instid0(SALU_CYCLE_1) | instskip(NEXT) | instid1(SALU_CYCLE_3)
	s_fmamk_f32 s2, s27, 0x4f800000, s2
	v_s_rcp_f32 s2, s2
	s_delay_alu instid0(TRANS32_DEP_1) | instskip(NEXT) | instid1(SALU_CYCLE_3)
	s_mul_f32 s2, s2, 0x5f7ffffc
	s_mul_f32 s27, s2, 0x2f800000
	s_delay_alu instid0(SALU_CYCLE_3) | instskip(NEXT) | instid1(SALU_CYCLE_3)
	s_trunc_f32 s27, s27
	s_fmamk_f32 s2, s27, 0xcf800000, s2
	s_cvt_u32_f32 s37, s27
	s_delay_alu instid0(SALU_CYCLE_2) | instskip(NEXT) | instid1(SALU_CYCLE_3)
	s_cvt_u32_f32 s36, s2
	s_mul_u64 s[40:41], s[38:39], s[36:37]
	s_delay_alu instid0(SALU_CYCLE_1)
	s_mul_hi_u32 s43, s36, s41
	s_mul_i32 s42, s36, s41
	s_mul_hi_u32 s2, s36, s40
	s_mul_i32 s29, s37, s40
	s_add_nc_u64 s[42:43], s[2:3], s[42:43]
	s_mul_hi_u32 s27, s37, s40
	s_mul_hi_u32 s34, s37, s41
	s_add_co_u32 s2, s42, s29
	s_add_co_ci_u32 s2, s43, s27
	s_mul_i32 s40, s37, s41
	s_add_co_ci_u32 s41, s34, 0
	s_delay_alu instid0(SALU_CYCLE_1) | instskip(NEXT) | instid1(SALU_CYCLE_1)
	s_add_nc_u64 s[40:41], s[2:3], s[40:41]
	s_add_co_u32 s36, s36, s40
	s_cselect_b32 s2, -1, 0
	s_delay_alu instid0(SALU_CYCLE_1) | instskip(SKIP_1) | instid1(SALU_CYCLE_1)
	s_cmp_lg_u32 s2, 0
	s_add_co_ci_u32 s37, s37, s41
	s_mul_u64 s[38:39], s[38:39], s[36:37]
	s_delay_alu instid0(SALU_CYCLE_1)
	s_mul_hi_u32 s41, s36, s39
	s_mul_i32 s40, s36, s39
	s_mul_hi_u32 s2, s36, s38
	s_mul_i32 s29, s37, s38
	s_add_nc_u64 s[40:41], s[2:3], s[40:41]
	s_mul_hi_u32 s27, s37, s38
	s_mul_hi_u32 s34, s37, s39
	s_add_co_u32 s2, s40, s29
	s_add_co_ci_u32 s2, s41, s27
	s_mul_i32 s38, s37, s39
	s_add_co_ci_u32 s39, s34, 0
	s_delay_alu instid0(SALU_CYCLE_1) | instskip(NEXT) | instid1(SALU_CYCLE_1)
	s_add_nc_u64 s[38:39], s[2:3], s[38:39]
	s_add_co_u32 s34, s36, s38
	s_cselect_b32 s2, -1, 0
	v_mul_hi_u32 v12, v4, s34
	s_cmp_lg_u32 s2, 0
	s_add_co_ci_u32 s2, s37, s39
	s_mov_b64 s[36:37], 0xffffffff
	v_mul_u64_e32 v[6:7], s[2:3], v[6:7]
	s_and_b64 s[36:37], s[34:35], s[36:37]
	s_delay_alu instid0(SALU_CYCLE_1) | instskip(SKIP_1) | instid1(VALU_DEP_3)
	v_mul_u64_e32 v[10:11], s[36:37], v[8:9]
	v_mul_u64_e32 v[8:9], s[2:3], v[8:9]
	v_add_nc_u64_e32 v[6:7], v[12:13], v[6:7]
	s_delay_alu instid0(VALU_DEP_1) | instskip(NEXT) | instid1(VALU_DEP_2)
	v_add_co_u32 v6, vcc_lo, v6, v10
	v_add_co_ci_u32_e32 v12, vcc_lo, v7, v11, vcc_lo
	s_delay_alu instid0(VALU_DEP_4) | instskip(NEXT) | instid1(VALU_DEP_1)
	v_add_co_ci_u32_e32 v9, vcc_lo, 0, v9, vcc_lo
	v_add_nc_u64_e32 v[6:7], v[12:13], v[8:9]
	s_delay_alu instid0(VALU_DEP_1) | instskip(NEXT) | instid1(VALU_DEP_1)
	v_mul_u64_e32 v[8:9], s[30:31], v[6:7]
	v_sub_nc_u32_e32 v10, v5, v9
	s_delay_alu instid0(VALU_DEP_2) | instskip(NEXT) | instid1(VALU_DEP_1)
	v_sub_co_u32 v4, vcc_lo, v4, v8
	v_sub_co_ci_u32_e64 v9, null, v5, v9, vcc_lo
	s_delay_alu instid0(VALU_DEP_3) | instskip(NEXT) | instid1(VALU_DEP_3)
	v_subrev_co_ci_u32_e64 v8, null, s31, v10, vcc_lo
	v_sub_co_u32 v12, s2, v4, s30
	v_cmp_le_u32_e32 vcc_lo, s30, v4
	s_delay_alu instid0(VALU_DEP_3) | instskip(NEXT) | instid1(VALU_DEP_3)
	v_subrev_co_ci_u32_e64 v8, null, 0, v8, s2
	v_cmp_le_u32_e64 s2, s30, v12
	v_add_nc_u64_e32 v[10:11], 2, v[6:7]
	v_cndmask_b32_e64 v14, 0, -1, vcc_lo
	s_delay_alu instid0(VALU_DEP_4) | instskip(SKIP_3) | instid1(VALU_DEP_1)
	v_cmp_eq_u32_e32 vcc_lo, s31, v8
	v_add_nc_u64_e32 v[4:5], 1, v[6:7]
	v_cndmask_b32_e64 v12, 0, -1, s2
	v_cmp_le_u32_e64 s2, s31, v8
	v_cndmask_b32_e64 v13, 0, -1, s2
	v_cmp_eq_u32_e64 s2, s31, v9
	s_delay_alu instid0(VALU_DEP_2) | instskip(SKIP_2) | instid1(VALU_DEP_3)
	v_cndmask_b32_e32 v8, v13, v12, vcc_lo
	v_cmp_le_u32_e32 vcc_lo, s31, v9
	v_cndmask_b32_e64 v12, 0, -1, vcc_lo
	v_cmp_ne_u32_e32 vcc_lo, 0, v8
	s_delay_alu instid0(VALU_DEP_2) | instskip(SKIP_1) | instid1(VALU_DEP_2)
	v_dual_cndmask_b32 v8, v12, v14, s2 :: v_dual_cndmask_b32 v5, v5, v11, vcc_lo
	v_cndmask_b32_e32 v4, v4, v10, vcc_lo
	v_cmp_ne_u32_e32 vcc_lo, 0, v8
	s_delay_alu instid0(VALU_DEP_2) | instskip(SKIP_1) | instid1(VALU_DEP_2)
	v_dual_cndmask_b32 v7, v7, v5 :: v_dual_cndmask_b32 v6, v6, v4
	v_dual_mov_b32 v5, s26 :: v_dual_mov_b32 v4, s26
	v_xor_b32_e32 v7, s26, v7
	s_delay_alu instid0(VALU_DEP_3) | instskip(NEXT) | instid1(VALU_DEP_1)
	v_xor_b32_e32 v6, s26, v6
	v_sub_nc_u64_e32 v[4:5], v[6:7], v[4:5]
	s_and_not1_b32 vcc_lo, exec_lo, s3
	s_cbranch_vccnz .LBB1_6
.LBB1_5:
	v_cvt_f32_u32_e32 v4, s24
	s_sub_co_i32 s2, 0, s24
	s_delay_alu instid0(VALU_DEP_1) | instskip(SKIP_1) | instid1(TRANS32_DEP_1)
	v_rcp_iflag_f32_e32 v4, v4
	v_nop
	v_mul_f32_e32 v4, 0x4f7ffffe, v4
	s_delay_alu instid0(VALU_DEP_1) | instskip(NEXT) | instid1(VALU_DEP_1)
	v_cvt_u32_f32_e32 v4, v4
	v_mul_lo_u32 v5, s2, v4
	s_delay_alu instid0(VALU_DEP_1) | instskip(NEXT) | instid1(VALU_DEP_1)
	v_mul_hi_u32 v5, v4, v5
	v_add_nc_u32_e32 v4, v4, v5
	s_delay_alu instid0(VALU_DEP_1) | instskip(NEXT) | instid1(VALU_DEP_1)
	v_mul_hi_u32 v4, v2, v4
	v_mul_lo_u32 v5, v4, s24
	s_delay_alu instid0(VALU_DEP_1) | instskip(NEXT) | instid1(VALU_DEP_1)
	v_dual_add_nc_u32 v6, 1, v4 :: v_dual_sub_nc_u32 v5, v2, v5
	v_subrev_nc_u32_e32 v7, s24, v5
	v_cmp_le_u32_e32 vcc_lo, s24, v5
	s_delay_alu instid0(VALU_DEP_2) | instskip(NEXT) | instid1(VALU_DEP_1)
	v_dual_cndmask_b32 v5, v5, v7 :: v_dual_cndmask_b32 v4, v4, v6
	v_cmp_le_u32_e32 vcc_lo, s24, v5
	s_delay_alu instid0(VALU_DEP_2) | instskip(NEXT) | instid1(VALU_DEP_1)
	v_dual_mov_b32 v5, 0 :: v_dual_add_nc_u32 v6, 1, v4
	v_cndmask_b32_e32 v4, v4, v6, vcc_lo
.LBB1_6:
	s_delay_alu instid0(VALU_DEP_1) | instskip(SKIP_1) | instid1(VALU_DEP_1)
	v_mul_u64_e32 v[6:7], s[24:25], v[4:5]
	v_mul_lo_u32 v5, v2, s4
	v_sub_nc_u32_e32 v8, v1, v5
	s_delay_alu instid0(VALU_DEP_3)
	v_sub_nc_u64_e32 v[6:7], v[2:3], v[6:7]
.LBB1_7:
	s_bfe_u32 s2, ttmp6, 0x40010
	s_and_b32 s3, ttmp7, 0xffff
	s_add_co_i32 s2, s2, 1
	s_bfe_u32 s25, ttmp6, 0x40004
	s_mul_i32 s2, s3, s2
	s_xor_b32 s34, s33, -1
	s_lshr_b32 s26, s28, 16
	s_add_co_i32 s25, s25, s2
	v_bfe_u32 v1, v0, 10, 10
	s_cmp_eq_u32 s35, 0
	v_mov_b32_e32 v11, 0
	s_cselect_b32 s2, s3, s25
	s_ashr_i32 s27, s10, 31
	v_mad_u32 v10, s2, s26, v1
	s_mov_b32 s26, s10
	s_mov_b32 s2, exec_lo
	s_delay_alu instid0(VALU_DEP_1)
	v_cmpx_gt_i64_e64 s[26:27], v[10:11]
	s_cbranch_execz .LBB1_33
; %bb.8:
	s_bfe_u32 s2, ttmp6, 0x4000c
	s_and_b32 s3, ttmp6, 15
	s_add_co_i32 s2, s2, 1
	s_and_b32 s10, s28, 0xffff
	s_mul_i32 s2, ttmp9, s2
	v_and_b32_e32 v0, 0x3ff, v0
	s_add_co_i32 s3, s3, s2
	s_cmp_eq_u32 s35, 0
	v_mov_b32_e32 v1, v11
	s_cselect_b32 s2, ttmp9, s3
	s_ashr_i32 s29, s11, 31
	v_mad_u32 v0, s2, s10, v0
	s_mov_b32 s28, s11
	s_delay_alu instid0(VALU_DEP_1) | instid1(SALU_CYCLE_1)
	v_cmp_gt_i64_e32 vcc_lo, s[28:29], v[0:1]
	s_and_b32 exec_lo, exec_lo, vcc_lo
	s_cbranch_execz .LBB1_33
; %bb.9:
	s_ashr_i32 s25, s9, 31
	v_cmp_gt_i32_e64 s2, s4, v8
	v_cmp_gt_i64_e32 vcc_lo, s[24:25], v[6:7]
	v_cmp_gt_i32_e64 s3, s8, v4
	s_and_b32 s2, s2, vcc_lo
	s_delay_alu instid0(SALU_CYCLE_1) | instskip(NEXT) | instid1(SALU_CYCLE_1)
	s_and_b32 s2, s2, s3
	s_and_b32 exec_lo, exec_lo, s2
	s_cbranch_execz .LBB1_33
; %bb.10:
	v_mul_lo_u32 v28, s15, v6
	s_max_u32 s15, s21, 1
	v_mul_lo_u32 v27, v10, s16
	s_cvt_f32_u32 s2, s15
	s_max_u32 s35, s22, 1
	v_mul_lo_u32 v26, v0, s17
	s_cvt_f32_u32 s17, s35
	v_rcp_iflag_f32_e32 v5, s2
	s_max_u32 s36, s23, 1
	s_load_b128 s[8:11], s[0:1], 0x0
	v_rcp_iflag_f32_e32 v9, s17
	v_subrev_nc_u32_e32 v29, s18, v28
	v_mov_b32_e32 v15, 0
	v_subrev_nc_u32_e32 v30, s19, v27
	v_readfirstlane_b32 s16, v5
	s_cvt_f32_u32 s30, s36
	v_max_i32_e32 v5, 0, v29
	v_subrev_nc_u32_e32 v31, s20, v26
	v_readfirstlane_b32 s17, v9
	v_rcp_iflag_f32_e32 v13, s30
	s_mul_f32 s16, s16, 0x4f7ffffe
	v_dual_add_nc_u32 v5, s18, v5 :: v_dual_max_i32 v12, 0, v30
	s_sub_co_i32 s2, 0, s15
	s_delay_alu instid0(SALU_CYCLE_1) | instskip(SKIP_1) | instid1(VALU_DEP_1)
	s_cvt_u32_f32 s16, s16
	s_mul_f32 s17, s17, 0x4f7ffffe
	v_cmp_ne_u32_e32 vcc_lo, v5, v28
	v_readfirstlane_b32 s30, v13
	s_mul_i32 s2, s2, s16
	s_sub_co_i32 s31, 0, s36
	s_mul_hi_u32 s2, s16, s2
	v_cndmask_b32_e64 v32, 0, 1, vcc_lo
	s_mul_f32 s30, s30, 0x4f7ffffe
	s_add_co_i32 s2, s16, s2
	s_cvt_u32_f32 s16, s17
	s_sub_co_i32 s17, 0, s35
	v_add_nc_u32_e32 v9, v28, v32
	v_add_nc_u32_e32 v12, s19, v12
	s_cvt_u32_f32 s30, s30
	s_mul_i32 s17, s17, s16
	s_mov_b32 s3, 0
	v_dual_sub_nc_u32 v14, v5, v9 :: v_dual_max_i32 v5, 0, v31
	v_cmp_ne_u32_e32 vcc_lo, v12, v27
	s_mul_i32 s31, s31, s30
	s_mul_hi_u32 s17, s16, s17
	s_delay_alu instid0(VALU_DEP_2)
	v_dual_mov_b32 v17, v15 :: v_dual_add_nc_u32 v5, s20, v5
	v_cndmask_b32_e64 v33, 0, 1, vcc_lo
	s_mul_hi_u32 s31, s30, s31
	s_add_co_i32 s16, s16, s17
	s_mov_b32 s17, s3
	v_cmp_ne_u32_e32 vcc_lo, v5, v26
	v_add_nc_u32_e32 v9, v27, v33
	s_add_co_i32 s30, s30, s31
	s_mov_b32 s31, s3
	v_mov_b32_e32 v19, v15
	v_cndmask_b32_e64 v34, 0, 1, vcc_lo
	v_sub_nc_u32_e32 v16, v12, v9
	s_and_not1_b32 vcc_lo, exec_lo, s34
	s_delay_alu instid0(VALU_DEP_2) | instskip(NEXT) | instid1(VALU_DEP_1)
	v_add_nc_u32_e32 v9, v26, v34
	v_sub_nc_u32_e32 v18, v5, v9
	s_cbranch_vccnz .LBB1_13
; %bb.11:
	s_ashr_i32 s39, s5, 31
	s_mov_b32 s38, s5
	s_ashr_i32 s41, s6, 31
	s_mov_b32 s40, s6
	;; [unrolled: 2-line block ×3, first 2 shown]
	s_mul_u64 s[38:39], s[40:41], s[38:39]
	s_mov_b32 s37, s3
	s_mul_u64 s[38:39], s[38:39], s[42:43]
	s_delay_alu instid0(SALU_CYCLE_1) | instskip(SKIP_1) | instid1(VALU_DEP_1)
	v_mul_u64_e32 v[12:13], s[38:39], v[2:3]
	s_wait_kmcnt 0x0
	v_lshl_add_u64 v[12:13], v[12:13], 2, s[8:9]
	s_branch .LBB1_14
.LBB1_12:
                                        ; implicit-def: $vgpr4_vgpr5
	s_branch .LBB1_5
.LBB1_13:
	s_mov_b32 s37, -1
                                        ; implicit-def: $vgpr12_vgpr13
.LBB1_14:
	v_mul_u64_e32 v[24:25], s[2:3], v[14:15]
	v_mul_u64_e32 v[22:23], s[16:17], v[16:17]
	;; [unrolled: 1-line block ×3, first 2 shown]
	s_load_b64 s[16:17], s[0:1], 0x10
	v_ashrrev_i32_e32 v9, 31, v8
	s_and_not1_b32 vcc_lo, exec_lo, s37
	s_cbranch_vccnz .LBB1_16
; %bb.15:
	s_wait_xcnt 0x0
	s_ashr_i32 s1, s5, 31
	s_mov_b32 s0, s5
	s_ashr_i32 s31, s4, 31
	s_mov_b32 s30, s4
	;; [unrolled: 2-line block ×3, first 2 shown]
	s_mul_u64 s[0:1], s[0:1], s[30:31]
	v_ashrrev_i32_e32 v5, 31, v4
	s_ashr_i32 s39, s7, 31
	s_mov_b32 s38, s7
	s_mul_u64 s[0:1], s[0:1], s[2:3]
	s_delay_alu instid0(SALU_CYCLE_1) | instskip(NEXT) | instid1(SALU_CYCLE_1)
	s_mul_u64 s[0:1], s[0:1], s[38:39]
	v_mul_u64_e32 v[12:13], s[0:1], v[4:5]
	s_wait_kmcnt 0x0
	s_delay_alu instid0(VALU_DEP_1) | instskip(NEXT) | instid1(VALU_DEP_1)
	v_lshl_add_u64 v[12:13], v[12:13], 2, s[8:9]
	v_lshl_add_u64 v[12:13], v[8:9], 2, v[12:13]
.LBB1_16:
	s_delay_alu instid0(VALU_DEP_4) | instskip(NEXT) | instid1(VALU_DEP_4)
	v_mul_lo_u32 v5, v25, s15
	v_mul_lo_u32 v15, v23, s35
	s_delay_alu instid0(VALU_DEP_4) | instskip(SKIP_1) | instid1(VALU_DEP_3)
	v_mul_lo_u32 v17, v21, s36
	v_add_nc_u32_e32 v19, 1, v25
	v_dual_sub_nc_u32 v5, v14, v5 :: v_dual_sub_nc_u32 v15, v16, v15
	v_add_nc_u32_e32 v14, 1, v23
	s_delay_alu instid0(VALU_DEP_2) | instskip(SKIP_1) | instid1(VALU_DEP_3)
	v_cmp_le_u32_e32 vcc_lo, s15, v5
	s_wait_xcnt 0x0
	v_cmp_le_u32_e64 s0, s35, v15
	v_sub_nc_u32_e32 v16, v18, v17
	v_subrev_nc_u32_e32 v17, s15, v5
	v_dual_add_nc_u32 v20, 1, v21 :: v_dual_cndmask_b32 v18, v25, v19, vcc_lo
	s_delay_alu instid0(VALU_DEP_4) | instskip(SKIP_1) | instid1(VALU_DEP_4)
	v_cndmask_b32_e64 v14, v23, v14, s0
	v_subrev_nc_u32_e32 v19, s35, v15
	v_cndmask_b32_e32 v5, v5, v17, vcc_lo
	v_cmp_le_u32_e32 vcc_lo, s36, v16
	s_delay_alu instid0(VALU_DEP_3) | instskip(NEXT) | instid1(VALU_DEP_3)
	v_dual_add_nc_u32 v17, 1, v18 :: v_dual_cndmask_b32 v15, v15, v19, s0
	v_cmp_le_u32_e64 s1, s15, v5
	v_cndmask_b32_e32 v20, v21, v20, vcc_lo
	v_subrev_nc_u32_e32 v21, s36, v16
	s_add_co_i32 s0, s12, -1
	v_dual_cndmask_b32 v5, v18, v17, s1 :: v_dual_add_nc_u32 v17, 1, v14
	s_delay_alu instid0(VALU_DEP_2) | instskip(SKIP_1) | instid1(VALU_DEP_3)
	v_dual_cndmask_b32 v16, v16, v21, vcc_lo :: v_dual_add_nc_u32 v18, 1, v20
	v_cmp_le_u32_e32 vcc_lo, s35, v15
	v_add_nc_u32_e32 v5, v5, v32
	s_mul_i32 s0, s21, s0
	s_delay_alu instid0(SALU_CYCLE_1)
	s_add_co_i32 s0, s0, 1
	v_cndmask_b32_e32 v14, v14, v17, vcc_lo
	v_cmp_le_u32_e32 vcc_lo, s36, v16
	v_mad_u32 v5, s21, v5, v28
	v_add_min_i32_e64 v25, s0, v29, s5
	s_mov_b32 s5, exec_lo
	v_dual_cndmask_b32 v15, v20, v18 :: v_dual_add_nc_u32 v14, v14, v33
	s_delay_alu instid0(VALU_DEP_1) | instskip(NEXT) | instid1(VALU_DEP_2)
	v_mul_lo_u32 v17, s22, v14
	v_add_nc_u32_e32 v15, v15, v34
	v_subrev_nc_u32_e32 v22, s18, v5
	s_delay_alu instid0(VALU_DEP_1) | instskip(NEXT) | instid1(VALU_DEP_4)
	v_mul_lo_u32 v18, v22, s6
	v_add_nc_u32_e32 v5, v17, v27
	s_delay_alu instid0(VALU_DEP_4) | instskip(NEXT) | instid1(VALU_DEP_2)
	v_mul_lo_u32 v16, s23, v15
	v_subrev_nc_u32_e32 v23, s19, v5
	s_delay_alu instid0(VALU_DEP_1) | instskip(NEXT) | instid1(VALU_DEP_3)
	v_add_nc_u32_e32 v5, v23, v18
	v_add_nc_u32_e32 v14, v16, v26
	s_delay_alu instid0(VALU_DEP_1) | instskip(NEXT) | instid1(VALU_DEP_1)
	v_subrev_nc_u32_e32 v24, s20, v14
	v_mad_u32 v14, v5, s7, v24
	v_mov_b32_e32 v5, 0xff800000
	s_delay_alu instid0(VALU_DEP_2)
	v_ashrrev_i32_e32 v15, 31, v14
	v_cmpx_lt_i32_e64 v22, v25
	s_cbranch_execz .LBB1_28
; %bb.17:
	v_add3_u32 v5, v18, v27, v17
	s_add_co_i32 s1, s14, -1
	s_add_co_i32 s0, s13, -1
	s_mul_i32 s1, s23, s1
	s_mul_i32 s0, s22, s0
	v_subrev_nc_u32_e32 v5, s19, v5
	s_add_co_i32 s1, s1, 1
	s_add_co_i32 s0, s0, 1
	s_wait_kmcnt 0x0
	s_mul_i32 s8, s21, s7
	v_add_min_i32_e64 v27, s0, v30, s6
	v_mul_lo_u32 v5, s7, v5
	s_mul_i32 s8, s8, s6
	s_mul_i32 s9, s22, s7
	s_mov_b32 s6, s23
	s_mov_b32 s15, 0
	v_cmp_lt_i32_e32 vcc_lo, v23, v27
	s_delay_alu instid0(VALU_DEP_2)
	v_add3_u32 v5, v5, v26, v16
	v_add_min_i32_e64 v26, s1, v31, s7
	s_and_b32 s1, exec_lo, s33
	s_cselect_b32 s14, s4, 1
	s_ashr_i32 s7, s23, 31
	v_subrev_nc_u32_e32 v28, s20, v5
	v_cmp_lt_i32_e64 s0, v24, v26
	v_mov_b32_e32 v5, 0xff800000
	s_mul_i32 s12, s8, s14
	s_mul_i32 s13, s9, s14
	v_mul_lo_u32 v29, s14, v28
	s_mul_i32 s14, s14, s23
	s_branch .LBB1_20
.LBB1_18:                               ;   in Loop: Header=BB1_20 Depth=1
	s_or_b32 exec_lo, exec_lo, s19
.LBB1_19:                               ;   in Loop: Header=BB1_20 Depth=1
	s_delay_alu instid0(SALU_CYCLE_1) | instskip(NEXT) | instid1(VALU_DEP_1)
	s_or_b32 exec_lo, exec_lo, s18
	v_dual_add_nc_u32 v22, s21, v22 :: v_dual_add_nc_u32 v29, s12, v29
	v_add_nc_u32_e32 v28, s8, v28
	s_delay_alu instid0(VALU_DEP_2) | instskip(SKIP_1) | instid1(SALU_CYCLE_1)
	v_cmp_ge_i32_e64 s1, v22, v25
	s_or_b32 s15, s1, s15
	s_and_not1_b32 exec_lo, exec_lo, s15
	s_cbranch_execz .LBB1_27
.LBB1_20:                               ; =>This Loop Header: Depth=1
                                        ;     Child Loop BB1_23 Depth 2
                                        ;       Child Loop BB1_25 Depth 3
	s_and_saveexec_b32 s18, vcc_lo
	s_cbranch_execz .LBB1_19
; %bb.21:                               ;   in Loop: Header=BB1_20 Depth=1
	s_delay_alu instid0(VALU_DEP_1)
	v_dual_mov_b32 v16, v28 :: v_dual_mov_b32 v30, v29
	v_mov_b32_e32 v31, v23
	s_mov_b32 s19, 0
	s_branch .LBB1_23
.LBB1_22:                               ;   in Loop: Header=BB1_23 Depth=2
	s_or_b32 exec_lo, exec_lo, s20
	v_dual_add_nc_u32 v31, s22, v31 :: v_dual_add_nc_u32 v30, s13, v30
	v_add_nc_u32_e32 v16, s9, v16
	s_delay_alu instid0(VALU_DEP_2) | instskip(SKIP_1) | instid1(SALU_CYCLE_1)
	v_cmp_ge_i32_e64 s1, v31, v27
	s_or_b32 s19, s1, s19
	s_and_not1_b32 exec_lo, exec_lo, s19
	s_cbranch_execz .LBB1_18
.LBB1_23:                               ;   Parent Loop BB1_20 Depth=1
                                        ; =>  This Loop Header: Depth=2
                                        ;       Child Loop BB1_25 Depth 3
	s_delay_alu instid0(VALU_DEP_2)
	v_ashrrev_i32_e32 v17, 31, v16
	s_and_saveexec_b32 s20, s0
	s_cbranch_execz .LBB1_22
; %bb.24:                               ;   in Loop: Header=BB1_23 Depth=2
	s_delay_alu instid0(VALU_DEP_1)
	v_mov_b64_e32 v[18:19], v[16:17]
	v_dual_mov_b32 v20, v30 :: v_dual_mov_b32 v17, v24
	s_mov_b32 s30, 0
.LBB1_25:                               ;   Parent Loop BB1_20 Depth=1
                                        ;     Parent Loop BB1_23 Depth=2
                                        ; =>    This Inner Loop Header: Depth=3
	s_delay_alu instid0(VALU_DEP_1) | instskip(NEXT) | instid1(VALU_DEP_1)
	v_dual_ashrrev_i32 v21, 31, v20 :: v_dual_add_nc_u32 v17, s23, v17
	v_lshl_add_u64 v[32:33], v[20:21], 2, v[12:13]
	s_delay_alu instid0(VALU_DEP_2)
	v_cmp_ge_i32_e64 s3, v17, v26
	global_load_b32 v21, v[32:33], off
	s_wait_loadcnt 0x0
	v_cmp_lt_f32_e64 s1, v5, v21
	v_cmp_u_f32_e64 s2, v21, v21
	s_or_b32 s1, s1, s2
	s_delay_alu instid0(SALU_CYCLE_1) | instskip(SKIP_3) | instid1(SALU_CYCLE_1)
	v_dual_add_nc_u32 v20, s14, v20 :: v_dual_cndmask_b32 v5, v5, v21, s1
	v_dual_cndmask_b32 v15, v15, v19, s1 :: v_dual_cndmask_b32 v14, v14, v18, s1
	v_add_nc_u64_e32 v[18:19], s[6:7], v[18:19]
	s_or_b32 s30, s3, s30
	s_and_not1_b32 exec_lo, exec_lo, s30
	s_cbranch_execnz .LBB1_25
; %bb.26:                               ;   in Loop: Header=BB1_23 Depth=2
	s_or_b32 exec_lo, exec_lo, s30
	s_branch .LBB1_22
.LBB1_27:
	s_or_b32 exec_lo, exec_lo, s15
.LBB1_28:
	s_delay_alu instid0(SALU_CYCLE_1) | instskip(NEXT) | instid1(SALU_CYCLE_1)
	s_or_b32 exec_lo, exec_lo, s5
	s_and_b32 vcc_lo, exec_lo, s34
	s_cbranch_vccz .LBB1_30
; %bb.29:
	v_mad_nc_u64_u32 v[12:13], v2, s24, v[6:7]
	s_delay_alu instid0(VALU_DEP_1) | instskip(NEXT) | instid1(VALU_DEP_2)
	v_mad_u32 v3, v3, s24, v13
	v_mad_nc_u64_u32 v[16:17], v12, s26, v[10:11]
	s_delay_alu instid0(VALU_DEP_2) | instskip(NEXT) | instid1(VALU_DEP_1)
	v_mad_u32 v2, v2, s25, v3
	v_mad_u32 v2, v2, s26, v17
	s_delay_alu instid0(VALU_DEP_1) | instskip(NEXT) | instid1(VALU_DEP_4)
	v_mad_u32 v12, v12, s27, v2
	v_mad_nc_u64_u32 v[2:3], v16, s28, v[0:1]
	s_delay_alu instid0(VALU_DEP_1) | instskip(NEXT) | instid1(VALU_DEP_1)
	v_mad_u32 v3, v12, s28, v3
	v_mad_u32 v3, v16, s29, v3
	s_cbranch_execz .LBB1_31
	s_branch .LBB1_32
.LBB1_30:
                                        ; implicit-def: $vgpr2_vgpr3
.LBB1_31:
	v_mad_nc_i64_i32 v[2:3], v4, s24, v[6:7]
	s_ashr_i32 s0, s4, 31
	s_delay_alu instid0(VALU_DEP_1) | instskip(NEXT) | instid1(VALU_DEP_1)
	v_mad_nc_u64_u32 v[6:7], v2, s26, v[10:11]
	v_mad_u32 v3, v3, s26, v7
	s_delay_alu instid0(VALU_DEP_2) | instskip(NEXT) | instid1(VALU_DEP_2)
	v_mad_nc_u64_u32 v[0:1], v6, s28, v[0:1]
	v_mad_u32 v2, v2, s27, v3
	s_delay_alu instid0(VALU_DEP_1) | instskip(NEXT) | instid1(VALU_DEP_3)
	v_mad_u32 v1, v2, s28, v1
	v_mad_nc_u64_u32 v[2:3], v0, s4, v[8:9]
	s_delay_alu instid0(VALU_DEP_2) | instskip(NEXT) | instid1(VALU_DEP_1)
	v_mad_u32 v1, v6, s29, v1
	v_mad_u32 v1, v1, s4, v3
	s_delay_alu instid0(VALU_DEP_1)
	v_mad_u32 v3, v0, s0, v1
.LBB1_32:
	s_wait_kmcnt 0x0
	s_delay_alu instid0(VALU_DEP_1)
	v_lshl_add_u64 v[0:1], v[2:3], 2, s[10:11]
	v_lshl_add_u64 v[2:3], v[2:3], 3, s[16:17]
	global_store_b32 v[0:1], v5, off
	global_store_b64 v[2:3], v[14:15], off
.LBB1_33:
	s_endpgm
	.section	.rodata,"a",@progbits
	.p2align	6, 0x0
	.amdhsa_kernel _ZN2at6native12_GLOBAL__N_140max_pool3d_with_indices_single_out_frameIfEEvPKT_PS3_Pliiiiiiiiiiiiiiiiiiiiib
		.amdhsa_group_segment_fixed_size 0
		.amdhsa_private_segment_fixed_size 0
		.amdhsa_kernarg_size 368
		.amdhsa_user_sgpr_count 2
		.amdhsa_user_sgpr_dispatch_ptr 0
		.amdhsa_user_sgpr_queue_ptr 0
		.amdhsa_user_sgpr_kernarg_segment_ptr 1
		.amdhsa_user_sgpr_dispatch_id 0
		.amdhsa_user_sgpr_kernarg_preload_length 0
		.amdhsa_user_sgpr_kernarg_preload_offset 0
		.amdhsa_user_sgpr_private_segment_size 0
		.amdhsa_wavefront_size32 1
		.amdhsa_uses_dynamic_stack 0
		.amdhsa_enable_private_segment 0
		.amdhsa_system_sgpr_workgroup_id_x 1
		.amdhsa_system_sgpr_workgroup_id_y 1
		.amdhsa_system_sgpr_workgroup_id_z 1
		.amdhsa_system_sgpr_workgroup_info 0
		.amdhsa_system_vgpr_workitem_id 2
		.amdhsa_next_free_vgpr 35
		.amdhsa_next_free_sgpr 44
		.amdhsa_named_barrier_count 0
		.amdhsa_reserve_vcc 1
		.amdhsa_float_round_mode_32 0
		.amdhsa_float_round_mode_16_64 0
		.amdhsa_float_denorm_mode_32 3
		.amdhsa_float_denorm_mode_16_64 3
		.amdhsa_fp16_overflow 0
		.amdhsa_memory_ordered 1
		.amdhsa_forward_progress 1
		.amdhsa_inst_pref_size 24
		.amdhsa_round_robin_scheduling 0
		.amdhsa_exception_fp_ieee_invalid_op 0
		.amdhsa_exception_fp_denorm_src 0
		.amdhsa_exception_fp_ieee_div_zero 0
		.amdhsa_exception_fp_ieee_overflow 0
		.amdhsa_exception_fp_ieee_underflow 0
		.amdhsa_exception_fp_ieee_inexact 0
		.amdhsa_exception_int_div_zero 0
	.end_amdhsa_kernel
	.section	.text._ZN2at6native12_GLOBAL__N_140max_pool3d_with_indices_single_out_frameIfEEvPKT_PS3_Pliiiiiiiiiiiiiiiiiiiiib,"axG",@progbits,_ZN2at6native12_GLOBAL__N_140max_pool3d_with_indices_single_out_frameIfEEvPKT_PS3_Pliiiiiiiiiiiiiiiiiiiiib,comdat
.Lfunc_end1:
	.size	_ZN2at6native12_GLOBAL__N_140max_pool3d_with_indices_single_out_frameIfEEvPKT_PS3_Pliiiiiiiiiiiiiiiiiiiiib, .Lfunc_end1-_ZN2at6native12_GLOBAL__N_140max_pool3d_with_indices_single_out_frameIfEEvPKT_PS3_Pliiiiiiiiiiiiiiiiiiiiib
                                        ; -- End function
	.set _ZN2at6native12_GLOBAL__N_140max_pool3d_with_indices_single_out_frameIfEEvPKT_PS3_Pliiiiiiiiiiiiiiiiiiiiib.num_vgpr, 35
	.set _ZN2at6native12_GLOBAL__N_140max_pool3d_with_indices_single_out_frameIfEEvPKT_PS3_Pliiiiiiiiiiiiiiiiiiiiib.num_agpr, 0
	.set _ZN2at6native12_GLOBAL__N_140max_pool3d_with_indices_single_out_frameIfEEvPKT_PS3_Pliiiiiiiiiiiiiiiiiiiiib.numbered_sgpr, 44
	.set _ZN2at6native12_GLOBAL__N_140max_pool3d_with_indices_single_out_frameIfEEvPKT_PS3_Pliiiiiiiiiiiiiiiiiiiiib.num_named_barrier, 0
	.set _ZN2at6native12_GLOBAL__N_140max_pool3d_with_indices_single_out_frameIfEEvPKT_PS3_Pliiiiiiiiiiiiiiiiiiiiib.private_seg_size, 0
	.set _ZN2at6native12_GLOBAL__N_140max_pool3d_with_indices_single_out_frameIfEEvPKT_PS3_Pliiiiiiiiiiiiiiiiiiiiib.uses_vcc, 1
	.set _ZN2at6native12_GLOBAL__N_140max_pool3d_with_indices_single_out_frameIfEEvPKT_PS3_Pliiiiiiiiiiiiiiiiiiiiib.uses_flat_scratch, 0
	.set _ZN2at6native12_GLOBAL__N_140max_pool3d_with_indices_single_out_frameIfEEvPKT_PS3_Pliiiiiiiiiiiiiiiiiiiiib.has_dyn_sized_stack, 0
	.set _ZN2at6native12_GLOBAL__N_140max_pool3d_with_indices_single_out_frameIfEEvPKT_PS3_Pliiiiiiiiiiiiiiiiiiiiib.has_recursion, 0
	.set _ZN2at6native12_GLOBAL__N_140max_pool3d_with_indices_single_out_frameIfEEvPKT_PS3_Pliiiiiiiiiiiiiiiiiiiiib.has_indirect_call, 0
	.section	.AMDGPU.csdata,"",@progbits
; Kernel info:
; codeLenInByte = 3016
; TotalNumSgprs: 46
; NumVgprs: 35
; ScratchSize: 0
; MemoryBound: 0
; FloatMode: 240
; IeeeMode: 1
; LDSByteSize: 0 bytes/workgroup (compile time only)
; SGPRBlocks: 0
; VGPRBlocks: 2
; NumSGPRsForWavesPerEU: 46
; NumVGPRsForWavesPerEU: 35
; NamedBarCnt: 0
; Occupancy: 16
; WaveLimiterHint : 0
; COMPUTE_PGM_RSRC2:SCRATCH_EN: 0
; COMPUTE_PGM_RSRC2:USER_SGPR: 2
; COMPUTE_PGM_RSRC2:TRAP_HANDLER: 0
; COMPUTE_PGM_RSRC2:TGID_X_EN: 1
; COMPUTE_PGM_RSRC2:TGID_Y_EN: 1
; COMPUTE_PGM_RSRC2:TGID_Z_EN: 1
; COMPUTE_PGM_RSRC2:TIDIG_COMP_CNT: 2
	.section	.text._ZN2at6native12_GLOBAL__N_140max_pool3d_with_indices_single_out_frameIN3c104HalfEEEvPKT_PS5_Pliiiiiiiiiiiiiiiiiiiiib,"axG",@progbits,_ZN2at6native12_GLOBAL__N_140max_pool3d_with_indices_single_out_frameIN3c104HalfEEEvPKT_PS5_Pliiiiiiiiiiiiiiiiiiiiib,comdat
	.globl	_ZN2at6native12_GLOBAL__N_140max_pool3d_with_indices_single_out_frameIN3c104HalfEEEvPKT_PS5_Pliiiiiiiiiiiiiiiiiiiiib ; -- Begin function _ZN2at6native12_GLOBAL__N_140max_pool3d_with_indices_single_out_frameIN3c104HalfEEEvPKT_PS5_Pliiiiiiiiiiiiiiiiiiiiib
	.p2align	8
	.type	_ZN2at6native12_GLOBAL__N_140max_pool3d_with_indices_single_out_frameIN3c104HalfEEEvPKT_PS5_Pliiiiiiiiiiiiiiiiiiiiib,@function
_ZN2at6native12_GLOBAL__N_140max_pool3d_with_indices_single_out_frameIN3c104HalfEEEvPKT_PS5_Pliiiiiiiiiiiiiiiiiiiiib: ; @_ZN2at6native12_GLOBAL__N_140max_pool3d_with_indices_single_out_frameIN3c104HalfEEEvPKT_PS5_Pliiiiiiiiiiiiiiiiiiiiib
; %bb.0:
	s_clause 0x3
	s_load_b64 s[2:3], s[0:1], 0x68
	s_load_b64 s[28:29], s[0:1], 0x7c
	s_load_b512 s[4:19], s[0:1], 0x18
	s_load_b128 s[20:23], s[0:1], 0x58
	s_getreg_b32 s35, hwreg(HW_REG_IB_STS2, 6, 4)
	v_bfe_u32 v1, v0, 20, 10
                                        ; implicit-def: $vgpr6_vgpr7
                                        ; implicit-def: $vgpr2_vgpr3
	s_wait_kmcnt 0x0
	s_bitcmp1_b32 s3, 0
	s_cselect_b32 s33, -1, 0
	s_bfe_u32 s3, ttmp6, 0x40014
	s_lshr_b32 s24, ttmp7, 16
	s_add_co_i32 s3, s3, 1
	s_bfe_u32 s25, ttmp6, 0x40008
	s_mul_i32 s3, s24, s3
	s_and_b32 s26, s29, 0xffff
	s_add_co_i32 s25, s25, s3
	s_cmp_eq_u32 s35, 0
	s_cselect_b32 s3, s24, s25
	s_mov_b32 s24, s9
	s_mul_i32 s3, s3, s26
	s_and_b32 vcc_lo, exec_lo, s33
	v_add3_u32 v1, s3, s2, v1
	s_mov_b32 s2, -1
	s_cbranch_vccnz .LBB2_2
; %bb.1:
	s_cvt_f32_u32 s2, s9
	s_sub_co_i32 s3, 0, s9
	v_mov_b32_e32 v7, 0
	s_delay_alu instid0(SALU_CYCLE_1) | instskip(SKIP_1) | instid1(TRANS32_DEP_1)
	v_rcp_iflag_f32_e32 v2, s2
	v_nop
	v_readfirstlane_b32 s2, v2
	s_mul_f32 s2, s2, 0x4f7ffffe
	s_delay_alu instid0(SALU_CYCLE_3) | instskip(NEXT) | instid1(SALU_CYCLE_3)
	s_cvt_u32_f32 s2, s2
	s_mul_i32 s3, s3, s2
	s_delay_alu instid0(SALU_CYCLE_1) | instskip(NEXT) | instid1(SALU_CYCLE_1)
	s_mul_hi_u32 s3, s2, s3
	s_add_co_i32 s2, s2, s3
	s_delay_alu instid0(SALU_CYCLE_1) | instskip(SKIP_1) | instid1(VALU_DEP_1)
	v_mul_hi_u32 v2, v1, s2
	s_mov_b32 s2, 0
	v_mul_lo_u32 v3, v2, s9
	s_delay_alu instid0(VALU_DEP_1) | instskip(NEXT) | instid1(VALU_DEP_1)
	v_dual_add_nc_u32 v4, 1, v2 :: v_dual_sub_nc_u32 v3, v1, v3
	v_subrev_nc_u32_e32 v5, s9, v3
	v_cmp_le_u32_e32 vcc_lo, s9, v3
	s_delay_alu instid0(VALU_DEP_2) | instskip(NEXT) | instid1(VALU_DEP_1)
	v_dual_cndmask_b32 v2, v2, v4 :: v_dual_cndmask_b32 v3, v3, v5
	v_add_nc_u32_e32 v4, 1, v2
	s_delay_alu instid0(VALU_DEP_2) | instskip(NEXT) | instid1(VALU_DEP_2)
	v_cmp_le_u32_e32 vcc_lo, s9, v3
	v_cndmask_b32_e32 v2, v2, v4, vcc_lo
	s_delay_alu instid0(VALU_DEP_1) | instskip(NEXT) | instid1(VALU_DEP_1)
	v_mul_lo_u32 v3, v2, s9
	v_dual_mov_b32 v3, v7 :: v_dual_sub_nc_u32 v6, v1, v3
.LBB2_2:
	v_dual_mov_b32 v4, 0 :: v_dual_mov_b32 v8, 0
	s_and_not1_b32 vcc_lo, exec_lo, s2
	s_cbranch_vccnz .LBB2_7
; %bb.3:
	s_cvt_f32_u32 s2, s4
	s_sub_co_i32 s3, 0, s4
	s_ashr_i32 s25, s9, 31
	s_delay_alu instid0(SALU_CYCLE_1) | instskip(SKIP_1) | instid1(TRANS32_DEP_1)
	v_rcp_iflag_f32_e32 v2, s2
	v_nop
	v_readfirstlane_b32 s2, v2
	s_mul_f32 s2, s2, 0x4f7ffffe
	s_delay_alu instid0(SALU_CYCLE_3) | instskip(NEXT) | instid1(SALU_CYCLE_3)
	s_cvt_u32_f32 s2, s2
	s_mul_i32 s3, s3, s2
	s_delay_alu instid0(SALU_CYCLE_1) | instskip(NEXT) | instid1(SALU_CYCLE_1)
	s_mul_hi_u32 s3, s2, s3
	s_add_co_i32 s2, s2, s3
	s_delay_alu instid0(SALU_CYCLE_1) | instskip(SKIP_1) | instid1(SALU_CYCLE_1)
	v_mul_hi_u32 v2, v1, s2
	s_and_b64 s[2:3], s[24:25], 0xffffffff00000000
	s_cmp_lg_u64 s[2:3], 0
	s_mov_b32 s3, 0
	s_delay_alu instid0(VALU_DEP_1) | instskip(NEXT) | instid1(VALU_DEP_1)
	v_mul_lo_u32 v3, v2, s4
	v_dual_add_nc_u32 v4, 1, v2 :: v_dual_sub_nc_u32 v3, v1, v3
	s_delay_alu instid0(VALU_DEP_1) | instskip(SKIP_1) | instid1(VALU_DEP_2)
	v_subrev_nc_u32_e32 v5, s4, v3
	v_cmp_le_u32_e32 vcc_lo, s4, v3
	v_dual_cndmask_b32 v2, v2, v4, vcc_lo :: v_dual_cndmask_b32 v4, v3, v5, vcc_lo
	s_delay_alu instid0(VALU_DEP_1) | instskip(NEXT) | instid1(VALU_DEP_2)
	v_dual_mov_b32 v3, 0 :: v_dual_add_nc_u32 v5, 1, v2
	v_cmp_le_u32_e32 vcc_lo, s4, v4
	s_delay_alu instid0(VALU_DEP_2)
	v_cndmask_b32_e32 v2, v2, v5, vcc_lo
	s_cbranch_scc0 .LBB2_12
; %bb.4:
	s_ashr_i32 s26, s25, 31
	s_delay_alu instid0(VALU_DEP_1)
	v_add_nc_u64_e32 v[4:5], 0, v[2:3]
	s_mov_b32 s27, s26
	v_mov_b32_e32 v7, v3
	s_add_nc_u64 s[30:31], s[24:25], s[26:27]
	v_mov_b32_e32 v9, v3
	s_xor_b64 s[30:31], s[30:31], s[26:27]
	v_mov_b32_e32 v13, v3
	s_cvt_f32_u32 s2, s30
	s_cvt_f32_u32 s27, s31
	s_sub_nc_u64 s[38:39], 0, s[30:31]
	v_dual_mov_b32 v6, v4 :: v_dual_mov_b32 v8, v5
	s_delay_alu instid0(SALU_CYCLE_1) | instskip(NEXT) | instid1(SALU_CYCLE_3)
	s_fmamk_f32 s2, s27, 0x4f800000, s2
	v_s_rcp_f32 s2, s2
	s_delay_alu instid0(TRANS32_DEP_1) | instskip(NEXT) | instid1(SALU_CYCLE_3)
	s_mul_f32 s2, s2, 0x5f7ffffc
	s_mul_f32 s27, s2, 0x2f800000
	s_delay_alu instid0(SALU_CYCLE_3) | instskip(NEXT) | instid1(SALU_CYCLE_3)
	s_trunc_f32 s27, s27
	s_fmamk_f32 s2, s27, 0xcf800000, s2
	s_cvt_u32_f32 s37, s27
	s_delay_alu instid0(SALU_CYCLE_2) | instskip(NEXT) | instid1(SALU_CYCLE_3)
	s_cvt_u32_f32 s36, s2
	s_mul_u64 s[40:41], s[38:39], s[36:37]
	s_delay_alu instid0(SALU_CYCLE_1)
	s_mul_hi_u32 s43, s36, s41
	s_mul_i32 s42, s36, s41
	s_mul_hi_u32 s2, s36, s40
	s_mul_i32 s29, s37, s40
	s_add_nc_u64 s[42:43], s[2:3], s[42:43]
	s_mul_hi_u32 s27, s37, s40
	s_mul_hi_u32 s34, s37, s41
	s_add_co_u32 s2, s42, s29
	s_add_co_ci_u32 s2, s43, s27
	s_mul_i32 s40, s37, s41
	s_add_co_ci_u32 s41, s34, 0
	s_delay_alu instid0(SALU_CYCLE_1) | instskip(NEXT) | instid1(SALU_CYCLE_1)
	s_add_nc_u64 s[40:41], s[2:3], s[40:41]
	s_add_co_u32 s36, s36, s40
	s_cselect_b32 s2, -1, 0
	s_delay_alu instid0(SALU_CYCLE_1) | instskip(SKIP_1) | instid1(SALU_CYCLE_1)
	s_cmp_lg_u32 s2, 0
	s_add_co_ci_u32 s37, s37, s41
	s_mul_u64 s[38:39], s[38:39], s[36:37]
	s_delay_alu instid0(SALU_CYCLE_1)
	s_mul_hi_u32 s41, s36, s39
	s_mul_i32 s40, s36, s39
	s_mul_hi_u32 s2, s36, s38
	s_mul_i32 s29, s37, s38
	s_add_nc_u64 s[40:41], s[2:3], s[40:41]
	s_mul_hi_u32 s27, s37, s38
	s_mul_hi_u32 s34, s37, s39
	s_add_co_u32 s2, s40, s29
	s_add_co_ci_u32 s2, s41, s27
	s_mul_i32 s38, s37, s39
	s_add_co_ci_u32 s39, s34, 0
	s_delay_alu instid0(SALU_CYCLE_1) | instskip(NEXT) | instid1(SALU_CYCLE_1)
	s_add_nc_u64 s[38:39], s[2:3], s[38:39]
	s_add_co_u32 s34, s36, s38
	s_cselect_b32 s2, -1, 0
	v_mul_hi_u32 v12, v4, s34
	s_cmp_lg_u32 s2, 0
	s_add_co_ci_u32 s2, s37, s39
	s_mov_b64 s[36:37], 0xffffffff
	v_mul_u64_e32 v[6:7], s[2:3], v[6:7]
	s_and_b64 s[36:37], s[34:35], s[36:37]
	s_delay_alu instid0(SALU_CYCLE_1) | instskip(SKIP_1) | instid1(VALU_DEP_3)
	v_mul_u64_e32 v[10:11], s[36:37], v[8:9]
	v_mul_u64_e32 v[8:9], s[2:3], v[8:9]
	v_add_nc_u64_e32 v[6:7], v[12:13], v[6:7]
	s_delay_alu instid0(VALU_DEP_1) | instskip(NEXT) | instid1(VALU_DEP_2)
	v_add_co_u32 v6, vcc_lo, v6, v10
	v_add_co_ci_u32_e32 v12, vcc_lo, v7, v11, vcc_lo
	s_delay_alu instid0(VALU_DEP_4) | instskip(NEXT) | instid1(VALU_DEP_1)
	v_add_co_ci_u32_e32 v9, vcc_lo, 0, v9, vcc_lo
	v_add_nc_u64_e32 v[6:7], v[12:13], v[8:9]
	s_delay_alu instid0(VALU_DEP_1) | instskip(NEXT) | instid1(VALU_DEP_1)
	v_mul_u64_e32 v[8:9], s[30:31], v[6:7]
	v_sub_nc_u32_e32 v10, v5, v9
	s_delay_alu instid0(VALU_DEP_2) | instskip(NEXT) | instid1(VALU_DEP_1)
	v_sub_co_u32 v4, vcc_lo, v4, v8
	v_sub_co_ci_u32_e64 v9, null, v5, v9, vcc_lo
	s_delay_alu instid0(VALU_DEP_3) | instskip(NEXT) | instid1(VALU_DEP_3)
	v_subrev_co_ci_u32_e64 v8, null, s31, v10, vcc_lo
	v_sub_co_u32 v12, s2, v4, s30
	v_cmp_le_u32_e32 vcc_lo, s30, v4
	s_delay_alu instid0(VALU_DEP_3) | instskip(NEXT) | instid1(VALU_DEP_3)
	v_subrev_co_ci_u32_e64 v8, null, 0, v8, s2
	v_cmp_le_u32_e64 s2, s30, v12
	v_add_nc_u64_e32 v[10:11], 2, v[6:7]
	v_cndmask_b32_e64 v14, 0, -1, vcc_lo
	s_delay_alu instid0(VALU_DEP_4) | instskip(SKIP_3) | instid1(VALU_DEP_1)
	v_cmp_eq_u32_e32 vcc_lo, s31, v8
	v_add_nc_u64_e32 v[4:5], 1, v[6:7]
	v_cndmask_b32_e64 v12, 0, -1, s2
	v_cmp_le_u32_e64 s2, s31, v8
	v_cndmask_b32_e64 v13, 0, -1, s2
	v_cmp_eq_u32_e64 s2, s31, v9
	s_delay_alu instid0(VALU_DEP_2) | instskip(SKIP_2) | instid1(VALU_DEP_3)
	v_cndmask_b32_e32 v8, v13, v12, vcc_lo
	v_cmp_le_u32_e32 vcc_lo, s31, v9
	v_cndmask_b32_e64 v12, 0, -1, vcc_lo
	v_cmp_ne_u32_e32 vcc_lo, 0, v8
	s_delay_alu instid0(VALU_DEP_2) | instskip(SKIP_1) | instid1(VALU_DEP_2)
	v_dual_cndmask_b32 v8, v12, v14, s2 :: v_dual_cndmask_b32 v5, v5, v11, vcc_lo
	v_cndmask_b32_e32 v4, v4, v10, vcc_lo
	v_cmp_ne_u32_e32 vcc_lo, 0, v8
	s_delay_alu instid0(VALU_DEP_2) | instskip(SKIP_1) | instid1(VALU_DEP_2)
	v_dual_cndmask_b32 v7, v7, v5 :: v_dual_cndmask_b32 v6, v6, v4
	v_dual_mov_b32 v5, s26 :: v_dual_mov_b32 v4, s26
	v_xor_b32_e32 v7, s26, v7
	s_delay_alu instid0(VALU_DEP_3) | instskip(NEXT) | instid1(VALU_DEP_1)
	v_xor_b32_e32 v6, s26, v6
	v_sub_nc_u64_e32 v[4:5], v[6:7], v[4:5]
	s_and_not1_b32 vcc_lo, exec_lo, s3
	s_cbranch_vccnz .LBB2_6
.LBB2_5:
	v_cvt_f32_u32_e32 v4, s24
	s_sub_co_i32 s2, 0, s24
	s_delay_alu instid0(VALU_DEP_1) | instskip(SKIP_1) | instid1(TRANS32_DEP_1)
	v_rcp_iflag_f32_e32 v4, v4
	v_nop
	v_mul_f32_e32 v4, 0x4f7ffffe, v4
	s_delay_alu instid0(VALU_DEP_1) | instskip(NEXT) | instid1(VALU_DEP_1)
	v_cvt_u32_f32_e32 v4, v4
	v_mul_lo_u32 v5, s2, v4
	s_delay_alu instid0(VALU_DEP_1) | instskip(NEXT) | instid1(VALU_DEP_1)
	v_mul_hi_u32 v5, v4, v5
	v_add_nc_u32_e32 v4, v4, v5
	s_delay_alu instid0(VALU_DEP_1) | instskip(NEXT) | instid1(VALU_DEP_1)
	v_mul_hi_u32 v4, v2, v4
	v_mul_lo_u32 v5, v4, s24
	s_delay_alu instid0(VALU_DEP_1) | instskip(NEXT) | instid1(VALU_DEP_1)
	v_dual_add_nc_u32 v6, 1, v4 :: v_dual_sub_nc_u32 v5, v2, v5
	v_subrev_nc_u32_e32 v7, s24, v5
	v_cmp_le_u32_e32 vcc_lo, s24, v5
	s_delay_alu instid0(VALU_DEP_2) | instskip(NEXT) | instid1(VALU_DEP_1)
	v_dual_cndmask_b32 v5, v5, v7 :: v_dual_cndmask_b32 v4, v4, v6
	v_cmp_le_u32_e32 vcc_lo, s24, v5
	s_delay_alu instid0(VALU_DEP_2) | instskip(NEXT) | instid1(VALU_DEP_1)
	v_dual_mov_b32 v5, 0 :: v_dual_add_nc_u32 v6, 1, v4
	v_cndmask_b32_e32 v4, v4, v6, vcc_lo
.LBB2_6:
	s_delay_alu instid0(VALU_DEP_1) | instskip(SKIP_1) | instid1(VALU_DEP_1)
	v_mul_u64_e32 v[6:7], s[24:25], v[4:5]
	v_mul_lo_u32 v5, v2, s4
	v_sub_nc_u32_e32 v8, v1, v5
	s_delay_alu instid0(VALU_DEP_3)
	v_sub_nc_u64_e32 v[6:7], v[2:3], v[6:7]
.LBB2_7:
	s_bfe_u32 s2, ttmp6, 0x40010
	s_and_b32 s3, ttmp7, 0xffff
	s_add_co_i32 s2, s2, 1
	s_bfe_u32 s25, ttmp6, 0x40004
	s_mul_i32 s2, s3, s2
	s_xor_b32 s34, s33, -1
	s_lshr_b32 s26, s28, 16
	s_add_co_i32 s25, s25, s2
	v_bfe_u32 v1, v0, 10, 10
	s_cmp_eq_u32 s35, 0
	v_mov_b32_e32 v11, 0
	s_cselect_b32 s2, s3, s25
	s_ashr_i32 s27, s10, 31
	v_mad_u32 v10, s2, s26, v1
	s_mov_b32 s26, s10
	s_mov_b32 s2, exec_lo
	s_delay_alu instid0(VALU_DEP_1)
	v_cmpx_gt_i64_e64 s[26:27], v[10:11]
	s_cbranch_execz .LBB2_33
; %bb.8:
	s_bfe_u32 s2, ttmp6, 0x4000c
	s_and_b32 s3, ttmp6, 15
	s_add_co_i32 s2, s2, 1
	s_and_b32 s10, s28, 0xffff
	s_mul_i32 s2, ttmp9, s2
	v_and_b32_e32 v0, 0x3ff, v0
	s_add_co_i32 s3, s3, s2
	s_cmp_eq_u32 s35, 0
	v_mov_b32_e32 v1, v11
	s_cselect_b32 s2, ttmp9, s3
	s_ashr_i32 s29, s11, 31
	v_mad_u32 v0, s2, s10, v0
	s_mov_b32 s28, s11
	s_delay_alu instid0(VALU_DEP_1) | instid1(SALU_CYCLE_1)
	v_cmp_gt_i64_e32 vcc_lo, s[28:29], v[0:1]
	s_and_b32 exec_lo, exec_lo, vcc_lo
	s_cbranch_execz .LBB2_33
; %bb.9:
	s_ashr_i32 s25, s9, 31
	v_cmp_gt_i32_e64 s2, s4, v8
	v_cmp_gt_i64_e32 vcc_lo, s[24:25], v[6:7]
	v_cmp_gt_i32_e64 s3, s8, v4
	s_and_b32 s2, s2, vcc_lo
	s_delay_alu instid0(SALU_CYCLE_1) | instskip(NEXT) | instid1(SALU_CYCLE_1)
	s_and_b32 s2, s2, s3
	s_and_b32 exec_lo, exec_lo, s2
	s_cbranch_execz .LBB2_33
; %bb.10:
	v_mul_lo_u32 v28, s15, v6
	s_max_u32 s15, s21, 1
	v_mul_lo_u32 v27, v10, s16
	s_cvt_f32_u32 s2, s15
	s_max_u32 s35, s22, 1
	v_mul_lo_u32 v26, v0, s17
	s_cvt_f32_u32 s17, s35
	v_rcp_iflag_f32_e32 v5, s2
	s_max_u32 s36, s23, 1
	s_load_b128 s[8:11], s[0:1], 0x0
	v_rcp_iflag_f32_e32 v9, s17
	v_subrev_nc_u32_e32 v29, s18, v28
	v_mov_b32_e32 v15, 0
	v_subrev_nc_u32_e32 v30, s19, v27
	v_readfirstlane_b32 s16, v5
	s_cvt_f32_u32 s30, s36
	v_max_i32_e32 v5, 0, v29
	v_subrev_nc_u32_e32 v31, s20, v26
	v_readfirstlane_b32 s17, v9
	v_rcp_iflag_f32_e32 v13, s30
	s_mul_f32 s16, s16, 0x4f7ffffe
	v_dual_add_nc_u32 v5, s18, v5 :: v_dual_max_i32 v12, 0, v30
	s_sub_co_i32 s2, 0, s15
	s_delay_alu instid0(SALU_CYCLE_1) | instskip(SKIP_1) | instid1(VALU_DEP_1)
	s_cvt_u32_f32 s16, s16
	s_mul_f32 s17, s17, 0x4f7ffffe
	v_cmp_ne_u32_e32 vcc_lo, v5, v28
	v_readfirstlane_b32 s30, v13
	s_mul_i32 s2, s2, s16
	s_sub_co_i32 s31, 0, s36
	s_mul_hi_u32 s2, s16, s2
	v_cndmask_b32_e64 v32, 0, 1, vcc_lo
	s_mul_f32 s30, s30, 0x4f7ffffe
	s_add_co_i32 s2, s16, s2
	s_cvt_u32_f32 s16, s17
	s_sub_co_i32 s17, 0, s35
	v_add_nc_u32_e32 v9, v28, v32
	v_add_nc_u32_e32 v12, s19, v12
	s_cvt_u32_f32 s30, s30
	s_mul_i32 s17, s17, s16
	s_mov_b32 s3, 0
	v_dual_sub_nc_u32 v14, v5, v9 :: v_dual_max_i32 v5, 0, v31
	v_cmp_ne_u32_e32 vcc_lo, v12, v27
	s_mul_i32 s31, s31, s30
	s_mul_hi_u32 s17, s16, s17
	s_delay_alu instid0(VALU_DEP_2)
	v_dual_mov_b32 v17, v15 :: v_dual_add_nc_u32 v5, s20, v5
	v_cndmask_b32_e64 v33, 0, 1, vcc_lo
	s_mul_hi_u32 s31, s30, s31
	s_add_co_i32 s16, s16, s17
	s_mov_b32 s17, s3
	v_cmp_ne_u32_e32 vcc_lo, v5, v26
	v_add_nc_u32_e32 v9, v27, v33
	s_add_co_i32 s30, s30, s31
	s_mov_b32 s31, s3
	v_mov_b32_e32 v19, v15
	v_cndmask_b32_e64 v34, 0, 1, vcc_lo
	v_sub_nc_u32_e32 v16, v12, v9
	s_and_not1_b32 vcc_lo, exec_lo, s34
	s_delay_alu instid0(VALU_DEP_2) | instskip(NEXT) | instid1(VALU_DEP_1)
	v_add_nc_u32_e32 v9, v26, v34
	v_sub_nc_u32_e32 v18, v5, v9
	s_cbranch_vccnz .LBB2_13
; %bb.11:
	s_ashr_i32 s39, s5, 31
	s_mov_b32 s38, s5
	s_ashr_i32 s41, s6, 31
	s_mov_b32 s40, s6
	;; [unrolled: 2-line block ×3, first 2 shown]
	s_mul_u64 s[38:39], s[40:41], s[38:39]
	s_mov_b32 s37, s3
	s_mul_u64 s[38:39], s[38:39], s[42:43]
	s_delay_alu instid0(SALU_CYCLE_1) | instskip(SKIP_1) | instid1(VALU_DEP_1)
	v_mul_u64_e32 v[12:13], s[38:39], v[2:3]
	s_wait_kmcnt 0x0
	v_lshl_add_u64 v[12:13], v[12:13], 1, s[8:9]
	s_branch .LBB2_14
.LBB2_12:
                                        ; implicit-def: $vgpr4_vgpr5
	s_branch .LBB2_5
.LBB2_13:
	s_mov_b32 s37, -1
                                        ; implicit-def: $vgpr12_vgpr13
.LBB2_14:
	v_mul_u64_e32 v[24:25], s[2:3], v[14:15]
	v_mul_u64_e32 v[22:23], s[16:17], v[16:17]
	v_mul_u64_e32 v[20:21], s[30:31], v[18:19]
	s_load_b64 s[16:17], s[0:1], 0x10
	v_ashrrev_i32_e32 v9, 31, v8
	s_and_not1_b32 vcc_lo, exec_lo, s37
	s_cbranch_vccnz .LBB2_16
; %bb.15:
	s_wait_xcnt 0x0
	s_ashr_i32 s1, s5, 31
	s_mov_b32 s0, s5
	s_ashr_i32 s31, s4, 31
	s_mov_b32 s30, s4
	;; [unrolled: 2-line block ×3, first 2 shown]
	s_mul_u64 s[0:1], s[0:1], s[30:31]
	v_ashrrev_i32_e32 v5, 31, v4
	s_ashr_i32 s39, s7, 31
	s_mov_b32 s38, s7
	s_mul_u64 s[0:1], s[0:1], s[2:3]
	s_delay_alu instid0(SALU_CYCLE_1) | instskip(NEXT) | instid1(SALU_CYCLE_1)
	s_mul_u64 s[0:1], s[0:1], s[38:39]
	v_mul_u64_e32 v[12:13], s[0:1], v[4:5]
	s_wait_kmcnt 0x0
	s_delay_alu instid0(VALU_DEP_1) | instskip(NEXT) | instid1(VALU_DEP_1)
	v_lshl_add_u64 v[12:13], v[12:13], 1, s[8:9]
	v_lshl_add_u64 v[12:13], v[8:9], 1, v[12:13]
.LBB2_16:
	s_delay_alu instid0(VALU_DEP_4) | instskip(NEXT) | instid1(VALU_DEP_4)
	v_mul_lo_u32 v5, v25, s15
	v_mul_lo_u32 v15, v23, s35
	s_delay_alu instid0(VALU_DEP_4) | instskip(SKIP_1) | instid1(VALU_DEP_3)
	v_mul_lo_u32 v17, v21, s36
	v_add_nc_u32_e32 v19, 1, v25
	v_dual_sub_nc_u32 v5, v14, v5 :: v_dual_sub_nc_u32 v15, v16, v15
	v_add_nc_u32_e32 v14, 1, v23
	s_delay_alu instid0(VALU_DEP_2) | instskip(SKIP_1) | instid1(VALU_DEP_3)
	v_cmp_le_u32_e32 vcc_lo, s15, v5
	s_wait_xcnt 0x0
	v_cmp_le_u32_e64 s0, s35, v15
	v_sub_nc_u32_e32 v16, v18, v17
	v_subrev_nc_u32_e32 v17, s15, v5
	v_dual_add_nc_u32 v20, 1, v21 :: v_dual_cndmask_b32 v18, v25, v19, vcc_lo
	s_delay_alu instid0(VALU_DEP_4) | instskip(SKIP_1) | instid1(VALU_DEP_4)
	v_cndmask_b32_e64 v14, v23, v14, s0
	v_subrev_nc_u32_e32 v19, s35, v15
	v_cndmask_b32_e32 v5, v5, v17, vcc_lo
	v_cmp_le_u32_e32 vcc_lo, s36, v16
	s_delay_alu instid0(VALU_DEP_3) | instskip(NEXT) | instid1(VALU_DEP_3)
	v_dual_add_nc_u32 v17, 1, v18 :: v_dual_cndmask_b32 v15, v15, v19, s0
	v_cmp_le_u32_e64 s1, s15, v5
	v_cndmask_b32_e32 v20, v21, v20, vcc_lo
	v_subrev_nc_u32_e32 v21, s36, v16
	s_add_co_i32 s0, s12, -1
	v_dual_cndmask_b32 v5, v18, v17, s1 :: v_dual_add_nc_u32 v17, 1, v14
	s_delay_alu instid0(VALU_DEP_2) | instskip(SKIP_1) | instid1(VALU_DEP_3)
	v_dual_cndmask_b32 v16, v16, v21, vcc_lo :: v_dual_add_nc_u32 v18, 1, v20
	v_cmp_le_u32_e32 vcc_lo, s35, v15
	v_add_nc_u32_e32 v5, v5, v32
	s_mul_i32 s0, s21, s0
	s_delay_alu instid0(SALU_CYCLE_1)
	s_add_co_i32 s0, s0, 1
	v_cndmask_b32_e32 v14, v14, v17, vcc_lo
	v_cmp_le_u32_e32 vcc_lo, s36, v16
	v_mad_u32 v5, s21, v5, v28
	v_add_min_i32_e64 v25, s0, v29, s5
	s_mov_b32 s5, exec_lo
	v_dual_cndmask_b32 v15, v20, v18 :: v_dual_add_nc_u32 v14, v14, v33
	s_delay_alu instid0(VALU_DEP_1) | instskip(NEXT) | instid1(VALU_DEP_2)
	v_mul_lo_u32 v17, s22, v14
	v_add_nc_u32_e32 v15, v15, v34
	v_subrev_nc_u32_e32 v22, s18, v5
	s_delay_alu instid0(VALU_DEP_1) | instskip(NEXT) | instid1(VALU_DEP_4)
	v_mul_lo_u32 v18, v22, s6
	v_add_nc_u32_e32 v5, v17, v27
	s_delay_alu instid0(VALU_DEP_4) | instskip(NEXT) | instid1(VALU_DEP_2)
	v_mul_lo_u32 v16, s23, v15
	v_subrev_nc_u32_e32 v23, s19, v5
	s_delay_alu instid0(VALU_DEP_1) | instskip(NEXT) | instid1(VALU_DEP_3)
	v_add_nc_u32_e32 v5, v23, v18
	v_add_nc_u32_e32 v14, v16, v26
	s_delay_alu instid0(VALU_DEP_1) | instskip(NEXT) | instid1(VALU_DEP_1)
	v_subrev_nc_u32_e32 v24, s20, v14
	v_mad_u32 v14, v5, s7, v24
	v_mov_b32_e32 v5, 0xfffffc00
	s_delay_alu instid0(VALU_DEP_2)
	v_ashrrev_i32_e32 v15, 31, v14
	v_cmpx_lt_i32_e64 v22, v25
	s_cbranch_execz .LBB2_28
; %bb.17:
	v_add3_u32 v5, v18, v27, v17
	s_add_co_i32 s1, s14, -1
	s_add_co_i32 s0, s13, -1
	s_mul_i32 s1, s23, s1
	s_mul_i32 s0, s22, s0
	v_subrev_nc_u32_e32 v5, s19, v5
	s_add_co_i32 s1, s1, 1
	s_add_co_i32 s0, s0, 1
	s_wait_kmcnt 0x0
	s_mul_i32 s8, s21, s7
	v_add_min_i32_e64 v27, s0, v30, s6
	v_mul_lo_u32 v5, s7, v5
	s_mul_i32 s8, s8, s6
	s_mul_i32 s9, s22, s7
	s_mov_b32 s6, s23
	s_mov_b32 s15, 0
	v_cmp_lt_i32_e32 vcc_lo, v23, v27
	s_delay_alu instid0(VALU_DEP_2)
	v_add3_u32 v5, v5, v26, v16
	v_add_min_i32_e64 v26, s1, v31, s7
	s_and_b32 s1, exec_lo, s33
	s_cselect_b32 s14, s4, 1
	s_ashr_i32 s7, s23, 31
	v_subrev_nc_u32_e32 v28, s20, v5
	v_cmp_lt_i32_e64 s0, v24, v26
	v_mov_b32_e32 v5, 0xfffffc00
	s_mul_i32 s12, s8, s14
	s_mul_i32 s13, s9, s14
	v_mul_lo_u32 v29, s14, v28
	s_mul_i32 s14, s14, s23
	s_branch .LBB2_20
.LBB2_18:                               ;   in Loop: Header=BB2_20 Depth=1
	s_or_b32 exec_lo, exec_lo, s19
.LBB2_19:                               ;   in Loop: Header=BB2_20 Depth=1
	s_delay_alu instid0(SALU_CYCLE_1) | instskip(NEXT) | instid1(VALU_DEP_1)
	s_or_b32 exec_lo, exec_lo, s18
	v_dual_add_nc_u32 v22, s21, v22 :: v_dual_add_nc_u32 v29, s12, v29
	v_add_nc_u32_e32 v28, s8, v28
	s_delay_alu instid0(VALU_DEP_2) | instskip(SKIP_1) | instid1(SALU_CYCLE_1)
	v_cmp_ge_i32_e64 s1, v22, v25
	s_or_b32 s15, s1, s15
	s_and_not1_b32 exec_lo, exec_lo, s15
	s_cbranch_execz .LBB2_27
.LBB2_20:                               ; =>This Loop Header: Depth=1
                                        ;     Child Loop BB2_23 Depth 2
                                        ;       Child Loop BB2_25 Depth 3
	s_and_saveexec_b32 s18, vcc_lo
	s_cbranch_execz .LBB2_19
; %bb.21:                               ;   in Loop: Header=BB2_20 Depth=1
	s_delay_alu instid0(VALU_DEP_1)
	v_dual_mov_b32 v16, v28 :: v_dual_mov_b32 v30, v29
	v_mov_b32_e32 v31, v23
	s_mov_b32 s19, 0
	s_branch .LBB2_23
.LBB2_22:                               ;   in Loop: Header=BB2_23 Depth=2
	s_or_b32 exec_lo, exec_lo, s20
	v_dual_add_nc_u32 v31, s22, v31 :: v_dual_add_nc_u32 v30, s13, v30
	v_add_nc_u32_e32 v16, s9, v16
	s_delay_alu instid0(VALU_DEP_2) | instskip(SKIP_1) | instid1(SALU_CYCLE_1)
	v_cmp_ge_i32_e64 s1, v31, v27
	s_or_b32 s19, s1, s19
	s_and_not1_b32 exec_lo, exec_lo, s19
	s_cbranch_execz .LBB2_18
.LBB2_23:                               ;   Parent Loop BB2_20 Depth=1
                                        ; =>  This Loop Header: Depth=2
                                        ;       Child Loop BB2_25 Depth 3
	s_delay_alu instid0(VALU_DEP_2)
	v_ashrrev_i32_e32 v17, 31, v16
	s_and_saveexec_b32 s20, s0
	s_cbranch_execz .LBB2_22
; %bb.24:                               ;   in Loop: Header=BB2_23 Depth=2
	s_delay_alu instid0(VALU_DEP_1)
	v_mov_b64_e32 v[18:19], v[16:17]
	v_dual_mov_b32 v20, v30 :: v_dual_mov_b32 v17, v24
	s_mov_b32 s30, 0
.LBB2_25:                               ;   Parent Loop BB2_20 Depth=1
                                        ;     Parent Loop BB2_23 Depth=2
                                        ; =>    This Inner Loop Header: Depth=3
	s_delay_alu instid0(VALU_DEP_1) | instskip(NEXT) | instid1(VALU_DEP_1)
	v_dual_ashrrev_i32 v21, 31, v20 :: v_dual_add_nc_u32 v17, s23, v17
	v_lshl_add_u64 v[32:33], v[20:21], 1, v[12:13]
	s_delay_alu instid0(VALU_DEP_2)
	v_cmp_ge_i32_e64 s3, v17, v26
	v_add_nc_u32_e32 v20, s14, v20
	global_load_u16 v21, v[32:33], off
	s_wait_loadcnt 0x0
	v_cmp_lt_f16_e64 s1, v5, v21
	v_cmp_u_f16_e64 s2, v21, v21
	s_or_b32 s1, s1, s2
	s_or_b32 s30, s3, s30
	v_dual_cndmask_b32 v5, v5, v21, s1 :: v_dual_cndmask_b32 v15, v15, v19, s1
	v_cndmask_b32_e64 v14, v14, v18, s1
	v_add_nc_u64_e32 v[18:19], s[6:7], v[18:19]
	s_and_not1_b32 exec_lo, exec_lo, s30
	s_cbranch_execnz .LBB2_25
; %bb.26:                               ;   in Loop: Header=BB2_23 Depth=2
	s_or_b32 exec_lo, exec_lo, s30
	s_branch .LBB2_22
.LBB2_27:
	s_or_b32 exec_lo, exec_lo, s15
.LBB2_28:
	s_delay_alu instid0(SALU_CYCLE_1) | instskip(NEXT) | instid1(SALU_CYCLE_1)
	s_or_b32 exec_lo, exec_lo, s5
	s_and_b32 vcc_lo, exec_lo, s34
	s_cbranch_vccz .LBB2_30
; %bb.29:
	v_mad_nc_u64_u32 v[12:13], v2, s24, v[6:7]
	s_delay_alu instid0(VALU_DEP_1) | instskip(NEXT) | instid1(VALU_DEP_2)
	v_mad_u32 v3, v3, s24, v13
	v_mad_nc_u64_u32 v[16:17], v12, s26, v[10:11]
	s_delay_alu instid0(VALU_DEP_2) | instskip(NEXT) | instid1(VALU_DEP_1)
	v_mad_u32 v2, v2, s25, v3
	v_mad_u32 v2, v2, s26, v17
	s_delay_alu instid0(VALU_DEP_1) | instskip(NEXT) | instid1(VALU_DEP_4)
	v_mad_u32 v12, v12, s27, v2
	v_mad_nc_u64_u32 v[2:3], v16, s28, v[0:1]
	s_delay_alu instid0(VALU_DEP_1) | instskip(NEXT) | instid1(VALU_DEP_1)
	v_mad_u32 v3, v12, s28, v3
	v_mad_u32 v3, v16, s29, v3
	s_cbranch_execz .LBB2_31
	s_branch .LBB2_32
.LBB2_30:
                                        ; implicit-def: $vgpr2_vgpr3
.LBB2_31:
	v_mad_nc_i64_i32 v[2:3], v4, s24, v[6:7]
	s_ashr_i32 s0, s4, 31
	s_delay_alu instid0(VALU_DEP_1) | instskip(NEXT) | instid1(VALU_DEP_1)
	v_mad_nc_u64_u32 v[6:7], v2, s26, v[10:11]
	v_mad_u32 v3, v3, s26, v7
	s_delay_alu instid0(VALU_DEP_2) | instskip(NEXT) | instid1(VALU_DEP_2)
	v_mad_nc_u64_u32 v[0:1], v6, s28, v[0:1]
	v_mad_u32 v2, v2, s27, v3
	s_delay_alu instid0(VALU_DEP_1) | instskip(NEXT) | instid1(VALU_DEP_3)
	v_mad_u32 v1, v2, s28, v1
	v_mad_nc_u64_u32 v[2:3], v0, s4, v[8:9]
	s_delay_alu instid0(VALU_DEP_2) | instskip(NEXT) | instid1(VALU_DEP_1)
	v_mad_u32 v1, v6, s29, v1
	v_mad_u32 v1, v1, s4, v3
	s_delay_alu instid0(VALU_DEP_1)
	v_mad_u32 v3, v0, s0, v1
.LBB2_32:
	s_wait_kmcnt 0x0
	s_delay_alu instid0(VALU_DEP_1)
	v_lshl_add_u64 v[0:1], v[2:3], 1, s[10:11]
	v_lshl_add_u64 v[2:3], v[2:3], 3, s[16:17]
	global_store_b16 v[0:1], v5, off
	global_store_b64 v[2:3], v[14:15], off
.LBB2_33:
	s_endpgm
	.section	.rodata,"a",@progbits
	.p2align	6, 0x0
	.amdhsa_kernel _ZN2at6native12_GLOBAL__N_140max_pool3d_with_indices_single_out_frameIN3c104HalfEEEvPKT_PS5_Pliiiiiiiiiiiiiiiiiiiiib
		.amdhsa_group_segment_fixed_size 0
		.amdhsa_private_segment_fixed_size 0
		.amdhsa_kernarg_size 368
		.amdhsa_user_sgpr_count 2
		.amdhsa_user_sgpr_dispatch_ptr 0
		.amdhsa_user_sgpr_queue_ptr 0
		.amdhsa_user_sgpr_kernarg_segment_ptr 1
		.amdhsa_user_sgpr_dispatch_id 0
		.amdhsa_user_sgpr_kernarg_preload_length 0
		.amdhsa_user_sgpr_kernarg_preload_offset 0
		.amdhsa_user_sgpr_private_segment_size 0
		.amdhsa_wavefront_size32 1
		.amdhsa_uses_dynamic_stack 0
		.amdhsa_enable_private_segment 0
		.amdhsa_system_sgpr_workgroup_id_x 1
		.amdhsa_system_sgpr_workgroup_id_y 1
		.amdhsa_system_sgpr_workgroup_id_z 1
		.amdhsa_system_sgpr_workgroup_info 0
		.amdhsa_system_vgpr_workitem_id 2
		.amdhsa_next_free_vgpr 35
		.amdhsa_next_free_sgpr 44
		.amdhsa_named_barrier_count 0
		.amdhsa_reserve_vcc 1
		.amdhsa_float_round_mode_32 0
		.amdhsa_float_round_mode_16_64 0
		.amdhsa_float_denorm_mode_32 3
		.amdhsa_float_denorm_mode_16_64 3
		.amdhsa_fp16_overflow 0
		.amdhsa_memory_ordered 1
		.amdhsa_forward_progress 1
		.amdhsa_inst_pref_size 24
		.amdhsa_round_robin_scheduling 0
		.amdhsa_exception_fp_ieee_invalid_op 0
		.amdhsa_exception_fp_denorm_src 0
		.amdhsa_exception_fp_ieee_div_zero 0
		.amdhsa_exception_fp_ieee_overflow 0
		.amdhsa_exception_fp_ieee_underflow 0
		.amdhsa_exception_fp_ieee_inexact 0
		.amdhsa_exception_int_div_zero 0
	.end_amdhsa_kernel
	.section	.text._ZN2at6native12_GLOBAL__N_140max_pool3d_with_indices_single_out_frameIN3c104HalfEEEvPKT_PS5_Pliiiiiiiiiiiiiiiiiiiiib,"axG",@progbits,_ZN2at6native12_GLOBAL__N_140max_pool3d_with_indices_single_out_frameIN3c104HalfEEEvPKT_PS5_Pliiiiiiiiiiiiiiiiiiiiib,comdat
.Lfunc_end2:
	.size	_ZN2at6native12_GLOBAL__N_140max_pool3d_with_indices_single_out_frameIN3c104HalfEEEvPKT_PS5_Pliiiiiiiiiiiiiiiiiiiiib, .Lfunc_end2-_ZN2at6native12_GLOBAL__N_140max_pool3d_with_indices_single_out_frameIN3c104HalfEEEvPKT_PS5_Pliiiiiiiiiiiiiiiiiiiiib
                                        ; -- End function
	.set _ZN2at6native12_GLOBAL__N_140max_pool3d_with_indices_single_out_frameIN3c104HalfEEEvPKT_PS5_Pliiiiiiiiiiiiiiiiiiiiib.num_vgpr, 35
	.set _ZN2at6native12_GLOBAL__N_140max_pool3d_with_indices_single_out_frameIN3c104HalfEEEvPKT_PS5_Pliiiiiiiiiiiiiiiiiiiiib.num_agpr, 0
	.set _ZN2at6native12_GLOBAL__N_140max_pool3d_with_indices_single_out_frameIN3c104HalfEEEvPKT_PS5_Pliiiiiiiiiiiiiiiiiiiiib.numbered_sgpr, 44
	.set _ZN2at6native12_GLOBAL__N_140max_pool3d_with_indices_single_out_frameIN3c104HalfEEEvPKT_PS5_Pliiiiiiiiiiiiiiiiiiiiib.num_named_barrier, 0
	.set _ZN2at6native12_GLOBAL__N_140max_pool3d_with_indices_single_out_frameIN3c104HalfEEEvPKT_PS5_Pliiiiiiiiiiiiiiiiiiiiib.private_seg_size, 0
	.set _ZN2at6native12_GLOBAL__N_140max_pool3d_with_indices_single_out_frameIN3c104HalfEEEvPKT_PS5_Pliiiiiiiiiiiiiiiiiiiiib.uses_vcc, 1
	.set _ZN2at6native12_GLOBAL__N_140max_pool3d_with_indices_single_out_frameIN3c104HalfEEEvPKT_PS5_Pliiiiiiiiiiiiiiiiiiiiib.uses_flat_scratch, 0
	.set _ZN2at6native12_GLOBAL__N_140max_pool3d_with_indices_single_out_frameIN3c104HalfEEEvPKT_PS5_Pliiiiiiiiiiiiiiiiiiiiib.has_dyn_sized_stack, 0
	.set _ZN2at6native12_GLOBAL__N_140max_pool3d_with_indices_single_out_frameIN3c104HalfEEEvPKT_PS5_Pliiiiiiiiiiiiiiiiiiiiib.has_recursion, 0
	.set _ZN2at6native12_GLOBAL__N_140max_pool3d_with_indices_single_out_frameIN3c104HalfEEEvPKT_PS5_Pliiiiiiiiiiiiiiiiiiiiib.has_indirect_call, 0
	.section	.AMDGPU.csdata,"",@progbits
; Kernel info:
; codeLenInByte = 3012
; TotalNumSgprs: 46
; NumVgprs: 35
; ScratchSize: 0
; MemoryBound: 0
; FloatMode: 240
; IeeeMode: 1
; LDSByteSize: 0 bytes/workgroup (compile time only)
; SGPRBlocks: 0
; VGPRBlocks: 2
; NumSGPRsForWavesPerEU: 46
; NumVGPRsForWavesPerEU: 35
; NamedBarCnt: 0
; Occupancy: 16
; WaveLimiterHint : 0
; COMPUTE_PGM_RSRC2:SCRATCH_EN: 0
; COMPUTE_PGM_RSRC2:USER_SGPR: 2
; COMPUTE_PGM_RSRC2:TRAP_HANDLER: 0
; COMPUTE_PGM_RSRC2:TGID_X_EN: 1
; COMPUTE_PGM_RSRC2:TGID_Y_EN: 1
; COMPUTE_PGM_RSRC2:TGID_Z_EN: 1
; COMPUTE_PGM_RSRC2:TIDIG_COMP_CNT: 2
	.section	.text._ZN2at6native12_GLOBAL__N_140max_pool3d_with_indices_single_out_frameIN3c108BFloat16EEEvPKT_PS5_Pliiiiiiiiiiiiiiiiiiiiib,"axG",@progbits,_ZN2at6native12_GLOBAL__N_140max_pool3d_with_indices_single_out_frameIN3c108BFloat16EEEvPKT_PS5_Pliiiiiiiiiiiiiiiiiiiiib,comdat
	.globl	_ZN2at6native12_GLOBAL__N_140max_pool3d_with_indices_single_out_frameIN3c108BFloat16EEEvPKT_PS5_Pliiiiiiiiiiiiiiiiiiiiib ; -- Begin function _ZN2at6native12_GLOBAL__N_140max_pool3d_with_indices_single_out_frameIN3c108BFloat16EEEvPKT_PS5_Pliiiiiiiiiiiiiiiiiiiiib
	.p2align	8
	.type	_ZN2at6native12_GLOBAL__N_140max_pool3d_with_indices_single_out_frameIN3c108BFloat16EEEvPKT_PS5_Pliiiiiiiiiiiiiiiiiiiiib,@function
_ZN2at6native12_GLOBAL__N_140max_pool3d_with_indices_single_out_frameIN3c108BFloat16EEEvPKT_PS5_Pliiiiiiiiiiiiiiiiiiiiib: ; @_ZN2at6native12_GLOBAL__N_140max_pool3d_with_indices_single_out_frameIN3c108BFloat16EEEvPKT_PS5_Pliiiiiiiiiiiiiiiiiiiiib
; %bb.0:
	s_clause 0x3
	s_load_b64 s[2:3], s[0:1], 0x68
	s_load_b64 s[28:29], s[0:1], 0x7c
	s_load_b512 s[4:19], s[0:1], 0x18
	s_load_b128 s[20:23], s[0:1], 0x58
	s_getreg_b32 s35, hwreg(HW_REG_IB_STS2, 6, 4)
	v_bfe_u32 v1, v0, 20, 10
                                        ; implicit-def: $vgpr6_vgpr7
                                        ; implicit-def: $vgpr2_vgpr3
	s_wait_kmcnt 0x0
	s_bitcmp1_b32 s3, 0
	s_cselect_b32 s33, -1, 0
	s_bfe_u32 s3, ttmp6, 0x40014
	s_lshr_b32 s24, ttmp7, 16
	s_add_co_i32 s3, s3, 1
	s_bfe_u32 s25, ttmp6, 0x40008
	s_mul_i32 s3, s24, s3
	s_and_b32 s26, s29, 0xffff
	s_add_co_i32 s25, s25, s3
	s_cmp_eq_u32 s35, 0
	s_cselect_b32 s3, s24, s25
	s_mov_b32 s24, s9
	s_mul_i32 s3, s3, s26
	s_and_b32 vcc_lo, exec_lo, s33
	v_add3_u32 v1, s3, s2, v1
	s_mov_b32 s2, -1
	s_cbranch_vccnz .LBB3_2
; %bb.1:
	s_cvt_f32_u32 s2, s9
	s_sub_co_i32 s3, 0, s9
	v_mov_b32_e32 v7, 0
	s_delay_alu instid0(SALU_CYCLE_1) | instskip(SKIP_1) | instid1(TRANS32_DEP_1)
	v_rcp_iflag_f32_e32 v2, s2
	v_nop
	v_readfirstlane_b32 s2, v2
	s_mul_f32 s2, s2, 0x4f7ffffe
	s_delay_alu instid0(SALU_CYCLE_3) | instskip(NEXT) | instid1(SALU_CYCLE_3)
	s_cvt_u32_f32 s2, s2
	s_mul_i32 s3, s3, s2
	s_delay_alu instid0(SALU_CYCLE_1) | instskip(NEXT) | instid1(SALU_CYCLE_1)
	s_mul_hi_u32 s3, s2, s3
	s_add_co_i32 s2, s2, s3
	s_delay_alu instid0(SALU_CYCLE_1) | instskip(SKIP_1) | instid1(VALU_DEP_1)
	v_mul_hi_u32 v2, v1, s2
	s_mov_b32 s2, 0
	v_mul_lo_u32 v3, v2, s9
	s_delay_alu instid0(VALU_DEP_1) | instskip(NEXT) | instid1(VALU_DEP_1)
	v_dual_add_nc_u32 v4, 1, v2 :: v_dual_sub_nc_u32 v3, v1, v3
	v_subrev_nc_u32_e32 v5, s9, v3
	v_cmp_le_u32_e32 vcc_lo, s9, v3
	s_delay_alu instid0(VALU_DEP_2) | instskip(NEXT) | instid1(VALU_DEP_1)
	v_dual_cndmask_b32 v2, v2, v4 :: v_dual_cndmask_b32 v3, v3, v5
	v_add_nc_u32_e32 v4, 1, v2
	s_delay_alu instid0(VALU_DEP_2) | instskip(NEXT) | instid1(VALU_DEP_2)
	v_cmp_le_u32_e32 vcc_lo, s9, v3
	v_cndmask_b32_e32 v2, v2, v4, vcc_lo
	s_delay_alu instid0(VALU_DEP_1) | instskip(NEXT) | instid1(VALU_DEP_1)
	v_mul_lo_u32 v3, v2, s9
	v_dual_mov_b32 v3, v7 :: v_dual_sub_nc_u32 v6, v1, v3
.LBB3_2:
	v_dual_mov_b32 v4, 0 :: v_dual_mov_b32 v8, 0
	s_and_not1_b32 vcc_lo, exec_lo, s2
	s_cbranch_vccnz .LBB3_7
; %bb.3:
	s_cvt_f32_u32 s2, s4
	s_sub_co_i32 s3, 0, s4
	s_ashr_i32 s25, s9, 31
	s_delay_alu instid0(SALU_CYCLE_1) | instskip(SKIP_1) | instid1(TRANS32_DEP_1)
	v_rcp_iflag_f32_e32 v2, s2
	v_nop
	v_readfirstlane_b32 s2, v2
	s_mul_f32 s2, s2, 0x4f7ffffe
	s_delay_alu instid0(SALU_CYCLE_3) | instskip(NEXT) | instid1(SALU_CYCLE_3)
	s_cvt_u32_f32 s2, s2
	s_mul_i32 s3, s3, s2
	s_delay_alu instid0(SALU_CYCLE_1) | instskip(NEXT) | instid1(SALU_CYCLE_1)
	s_mul_hi_u32 s3, s2, s3
	s_add_co_i32 s2, s2, s3
	s_delay_alu instid0(SALU_CYCLE_1) | instskip(SKIP_1) | instid1(SALU_CYCLE_1)
	v_mul_hi_u32 v2, v1, s2
	s_and_b64 s[2:3], s[24:25], 0xffffffff00000000
	s_cmp_lg_u64 s[2:3], 0
	s_mov_b32 s3, 0
	s_delay_alu instid0(VALU_DEP_1) | instskip(NEXT) | instid1(VALU_DEP_1)
	v_mul_lo_u32 v3, v2, s4
	v_dual_add_nc_u32 v4, 1, v2 :: v_dual_sub_nc_u32 v3, v1, v3
	s_delay_alu instid0(VALU_DEP_1) | instskip(SKIP_1) | instid1(VALU_DEP_2)
	v_subrev_nc_u32_e32 v5, s4, v3
	v_cmp_le_u32_e32 vcc_lo, s4, v3
	v_dual_cndmask_b32 v2, v2, v4, vcc_lo :: v_dual_cndmask_b32 v4, v3, v5, vcc_lo
	s_delay_alu instid0(VALU_DEP_1) | instskip(NEXT) | instid1(VALU_DEP_2)
	v_dual_mov_b32 v3, 0 :: v_dual_add_nc_u32 v5, 1, v2
	v_cmp_le_u32_e32 vcc_lo, s4, v4
	s_delay_alu instid0(VALU_DEP_2)
	v_cndmask_b32_e32 v2, v2, v5, vcc_lo
	s_cbranch_scc0 .LBB3_12
; %bb.4:
	s_ashr_i32 s26, s25, 31
	s_delay_alu instid0(VALU_DEP_1)
	v_add_nc_u64_e32 v[4:5], 0, v[2:3]
	s_mov_b32 s27, s26
	v_mov_b32_e32 v7, v3
	s_add_nc_u64 s[30:31], s[24:25], s[26:27]
	v_mov_b32_e32 v9, v3
	s_xor_b64 s[30:31], s[30:31], s[26:27]
	v_mov_b32_e32 v13, v3
	s_cvt_f32_u32 s2, s30
	s_cvt_f32_u32 s27, s31
	s_sub_nc_u64 s[38:39], 0, s[30:31]
	v_dual_mov_b32 v6, v4 :: v_dual_mov_b32 v8, v5
	s_delay_alu instid0(SALU_CYCLE_1) | instskip(NEXT) | instid1(SALU_CYCLE_3)
	s_fmamk_f32 s2, s27, 0x4f800000, s2
	v_s_rcp_f32 s2, s2
	s_delay_alu instid0(TRANS32_DEP_1) | instskip(NEXT) | instid1(SALU_CYCLE_3)
	s_mul_f32 s2, s2, 0x5f7ffffc
	s_mul_f32 s27, s2, 0x2f800000
	s_delay_alu instid0(SALU_CYCLE_3) | instskip(NEXT) | instid1(SALU_CYCLE_3)
	s_trunc_f32 s27, s27
	s_fmamk_f32 s2, s27, 0xcf800000, s2
	s_cvt_u32_f32 s37, s27
	s_delay_alu instid0(SALU_CYCLE_2) | instskip(NEXT) | instid1(SALU_CYCLE_3)
	s_cvt_u32_f32 s36, s2
	s_mul_u64 s[40:41], s[38:39], s[36:37]
	s_delay_alu instid0(SALU_CYCLE_1)
	s_mul_hi_u32 s43, s36, s41
	s_mul_i32 s42, s36, s41
	s_mul_hi_u32 s2, s36, s40
	s_mul_i32 s29, s37, s40
	s_add_nc_u64 s[42:43], s[2:3], s[42:43]
	s_mul_hi_u32 s27, s37, s40
	s_mul_hi_u32 s34, s37, s41
	s_add_co_u32 s2, s42, s29
	s_add_co_ci_u32 s2, s43, s27
	s_mul_i32 s40, s37, s41
	s_add_co_ci_u32 s41, s34, 0
	s_delay_alu instid0(SALU_CYCLE_1) | instskip(NEXT) | instid1(SALU_CYCLE_1)
	s_add_nc_u64 s[40:41], s[2:3], s[40:41]
	s_add_co_u32 s36, s36, s40
	s_cselect_b32 s2, -1, 0
	s_delay_alu instid0(SALU_CYCLE_1) | instskip(SKIP_1) | instid1(SALU_CYCLE_1)
	s_cmp_lg_u32 s2, 0
	s_add_co_ci_u32 s37, s37, s41
	s_mul_u64 s[38:39], s[38:39], s[36:37]
	s_delay_alu instid0(SALU_CYCLE_1)
	s_mul_hi_u32 s41, s36, s39
	s_mul_i32 s40, s36, s39
	s_mul_hi_u32 s2, s36, s38
	s_mul_i32 s29, s37, s38
	s_add_nc_u64 s[40:41], s[2:3], s[40:41]
	s_mul_hi_u32 s27, s37, s38
	s_mul_hi_u32 s34, s37, s39
	s_add_co_u32 s2, s40, s29
	s_add_co_ci_u32 s2, s41, s27
	s_mul_i32 s38, s37, s39
	s_add_co_ci_u32 s39, s34, 0
	s_delay_alu instid0(SALU_CYCLE_1) | instskip(NEXT) | instid1(SALU_CYCLE_1)
	s_add_nc_u64 s[38:39], s[2:3], s[38:39]
	s_add_co_u32 s34, s36, s38
	s_cselect_b32 s2, -1, 0
	v_mul_hi_u32 v12, v4, s34
	s_cmp_lg_u32 s2, 0
	s_add_co_ci_u32 s2, s37, s39
	s_mov_b64 s[36:37], 0xffffffff
	v_mul_u64_e32 v[6:7], s[2:3], v[6:7]
	s_and_b64 s[36:37], s[34:35], s[36:37]
	s_delay_alu instid0(SALU_CYCLE_1) | instskip(SKIP_1) | instid1(VALU_DEP_3)
	v_mul_u64_e32 v[10:11], s[36:37], v[8:9]
	v_mul_u64_e32 v[8:9], s[2:3], v[8:9]
	v_add_nc_u64_e32 v[6:7], v[12:13], v[6:7]
	s_delay_alu instid0(VALU_DEP_1) | instskip(NEXT) | instid1(VALU_DEP_2)
	v_add_co_u32 v6, vcc_lo, v6, v10
	v_add_co_ci_u32_e32 v12, vcc_lo, v7, v11, vcc_lo
	s_delay_alu instid0(VALU_DEP_4) | instskip(NEXT) | instid1(VALU_DEP_1)
	v_add_co_ci_u32_e32 v9, vcc_lo, 0, v9, vcc_lo
	v_add_nc_u64_e32 v[6:7], v[12:13], v[8:9]
	s_delay_alu instid0(VALU_DEP_1) | instskip(NEXT) | instid1(VALU_DEP_1)
	v_mul_u64_e32 v[8:9], s[30:31], v[6:7]
	v_sub_nc_u32_e32 v10, v5, v9
	s_delay_alu instid0(VALU_DEP_2) | instskip(NEXT) | instid1(VALU_DEP_1)
	v_sub_co_u32 v4, vcc_lo, v4, v8
	v_sub_co_ci_u32_e64 v9, null, v5, v9, vcc_lo
	s_delay_alu instid0(VALU_DEP_3) | instskip(NEXT) | instid1(VALU_DEP_3)
	v_subrev_co_ci_u32_e64 v8, null, s31, v10, vcc_lo
	v_sub_co_u32 v12, s2, v4, s30
	v_cmp_le_u32_e32 vcc_lo, s30, v4
	s_delay_alu instid0(VALU_DEP_3) | instskip(NEXT) | instid1(VALU_DEP_3)
	v_subrev_co_ci_u32_e64 v8, null, 0, v8, s2
	v_cmp_le_u32_e64 s2, s30, v12
	v_add_nc_u64_e32 v[10:11], 2, v[6:7]
	v_cndmask_b32_e64 v14, 0, -1, vcc_lo
	s_delay_alu instid0(VALU_DEP_4) | instskip(SKIP_3) | instid1(VALU_DEP_1)
	v_cmp_eq_u32_e32 vcc_lo, s31, v8
	v_add_nc_u64_e32 v[4:5], 1, v[6:7]
	v_cndmask_b32_e64 v12, 0, -1, s2
	v_cmp_le_u32_e64 s2, s31, v8
	v_cndmask_b32_e64 v13, 0, -1, s2
	v_cmp_eq_u32_e64 s2, s31, v9
	s_delay_alu instid0(VALU_DEP_2) | instskip(SKIP_2) | instid1(VALU_DEP_3)
	v_cndmask_b32_e32 v8, v13, v12, vcc_lo
	v_cmp_le_u32_e32 vcc_lo, s31, v9
	v_cndmask_b32_e64 v12, 0, -1, vcc_lo
	v_cmp_ne_u32_e32 vcc_lo, 0, v8
	s_delay_alu instid0(VALU_DEP_2) | instskip(SKIP_1) | instid1(VALU_DEP_2)
	v_dual_cndmask_b32 v8, v12, v14, s2 :: v_dual_cndmask_b32 v5, v5, v11, vcc_lo
	v_cndmask_b32_e32 v4, v4, v10, vcc_lo
	v_cmp_ne_u32_e32 vcc_lo, 0, v8
	s_delay_alu instid0(VALU_DEP_2) | instskip(SKIP_1) | instid1(VALU_DEP_2)
	v_dual_cndmask_b32 v7, v7, v5 :: v_dual_cndmask_b32 v6, v6, v4
	v_dual_mov_b32 v5, s26 :: v_dual_mov_b32 v4, s26
	v_xor_b32_e32 v7, s26, v7
	s_delay_alu instid0(VALU_DEP_3) | instskip(NEXT) | instid1(VALU_DEP_1)
	v_xor_b32_e32 v6, s26, v6
	v_sub_nc_u64_e32 v[4:5], v[6:7], v[4:5]
	s_and_not1_b32 vcc_lo, exec_lo, s3
	s_cbranch_vccnz .LBB3_6
.LBB3_5:
	v_cvt_f32_u32_e32 v4, s24
	s_sub_co_i32 s2, 0, s24
	s_delay_alu instid0(VALU_DEP_1) | instskip(SKIP_1) | instid1(TRANS32_DEP_1)
	v_rcp_iflag_f32_e32 v4, v4
	v_nop
	v_mul_f32_e32 v4, 0x4f7ffffe, v4
	s_delay_alu instid0(VALU_DEP_1) | instskip(NEXT) | instid1(VALU_DEP_1)
	v_cvt_u32_f32_e32 v4, v4
	v_mul_lo_u32 v5, s2, v4
	s_delay_alu instid0(VALU_DEP_1) | instskip(NEXT) | instid1(VALU_DEP_1)
	v_mul_hi_u32 v5, v4, v5
	v_add_nc_u32_e32 v4, v4, v5
	s_delay_alu instid0(VALU_DEP_1) | instskip(NEXT) | instid1(VALU_DEP_1)
	v_mul_hi_u32 v4, v2, v4
	v_mul_lo_u32 v5, v4, s24
	s_delay_alu instid0(VALU_DEP_1) | instskip(NEXT) | instid1(VALU_DEP_1)
	v_dual_add_nc_u32 v6, 1, v4 :: v_dual_sub_nc_u32 v5, v2, v5
	v_subrev_nc_u32_e32 v7, s24, v5
	v_cmp_le_u32_e32 vcc_lo, s24, v5
	s_delay_alu instid0(VALU_DEP_2) | instskip(NEXT) | instid1(VALU_DEP_1)
	v_dual_cndmask_b32 v5, v5, v7 :: v_dual_cndmask_b32 v4, v4, v6
	v_cmp_le_u32_e32 vcc_lo, s24, v5
	s_delay_alu instid0(VALU_DEP_2) | instskip(NEXT) | instid1(VALU_DEP_1)
	v_dual_mov_b32 v5, 0 :: v_dual_add_nc_u32 v6, 1, v4
	v_cndmask_b32_e32 v4, v4, v6, vcc_lo
.LBB3_6:
	s_delay_alu instid0(VALU_DEP_1) | instskip(SKIP_1) | instid1(VALU_DEP_1)
	v_mul_u64_e32 v[6:7], s[24:25], v[4:5]
	v_mul_lo_u32 v5, v2, s4
	v_sub_nc_u32_e32 v8, v1, v5
	s_delay_alu instid0(VALU_DEP_3)
	v_sub_nc_u64_e32 v[6:7], v[2:3], v[6:7]
.LBB3_7:
	s_bfe_u32 s2, ttmp6, 0x40010
	s_and_b32 s3, ttmp7, 0xffff
	s_add_co_i32 s2, s2, 1
	s_bfe_u32 s25, ttmp6, 0x40004
	s_mul_i32 s2, s3, s2
	s_xor_b32 s34, s33, -1
	s_lshr_b32 s26, s28, 16
	s_add_co_i32 s25, s25, s2
	v_bfe_u32 v1, v0, 10, 10
	s_cmp_eq_u32 s35, 0
	v_mov_b32_e32 v11, 0
	s_cselect_b32 s2, s3, s25
	s_ashr_i32 s27, s10, 31
	v_mad_u32 v10, s2, s26, v1
	s_mov_b32 s26, s10
	s_mov_b32 s2, exec_lo
	s_delay_alu instid0(VALU_DEP_1)
	v_cmpx_gt_i64_e64 s[26:27], v[10:11]
	s_cbranch_execz .LBB3_33
; %bb.8:
	s_bfe_u32 s2, ttmp6, 0x4000c
	s_and_b32 s3, ttmp6, 15
	s_add_co_i32 s2, s2, 1
	s_and_b32 s10, s28, 0xffff
	s_mul_i32 s2, ttmp9, s2
	v_and_b32_e32 v0, 0x3ff, v0
	s_add_co_i32 s3, s3, s2
	s_cmp_eq_u32 s35, 0
	v_mov_b32_e32 v1, v11
	s_cselect_b32 s2, ttmp9, s3
	s_ashr_i32 s29, s11, 31
	v_mad_u32 v0, s2, s10, v0
	s_mov_b32 s28, s11
	s_delay_alu instid0(VALU_DEP_1) | instid1(SALU_CYCLE_1)
	v_cmp_gt_i64_e32 vcc_lo, s[28:29], v[0:1]
	s_and_b32 exec_lo, exec_lo, vcc_lo
	s_cbranch_execz .LBB3_33
; %bb.9:
	s_ashr_i32 s25, s9, 31
	v_cmp_gt_i32_e64 s2, s4, v8
	v_cmp_gt_i64_e32 vcc_lo, s[24:25], v[6:7]
	v_cmp_gt_i32_e64 s3, s8, v4
	s_and_b32 s2, s2, vcc_lo
	s_delay_alu instid0(SALU_CYCLE_1) | instskip(NEXT) | instid1(SALU_CYCLE_1)
	s_and_b32 s2, s2, s3
	s_and_b32 exec_lo, exec_lo, s2
	s_cbranch_execz .LBB3_33
; %bb.10:
	v_mul_lo_u32 v28, s15, v6
	s_max_u32 s15, s21, 1
	v_mul_lo_u32 v27, v10, s16
	s_cvt_f32_u32 s2, s15
	s_max_u32 s35, s22, 1
	v_mul_lo_u32 v26, v0, s17
	s_cvt_f32_u32 s17, s35
	v_rcp_iflag_f32_e32 v5, s2
	s_max_u32 s36, s23, 1
	s_load_b128 s[8:11], s[0:1], 0x0
	v_rcp_iflag_f32_e32 v9, s17
	v_subrev_nc_u32_e32 v29, s18, v28
	v_mov_b32_e32 v15, 0
	v_subrev_nc_u32_e32 v30, s19, v27
	v_readfirstlane_b32 s16, v5
	s_cvt_f32_u32 s30, s36
	v_max_i32_e32 v5, 0, v29
	v_subrev_nc_u32_e32 v31, s20, v26
	v_readfirstlane_b32 s17, v9
	v_rcp_iflag_f32_e32 v13, s30
	s_mul_f32 s16, s16, 0x4f7ffffe
	v_dual_add_nc_u32 v5, s18, v5 :: v_dual_max_i32 v12, 0, v30
	s_sub_co_i32 s2, 0, s15
	s_delay_alu instid0(SALU_CYCLE_1) | instskip(SKIP_1) | instid1(VALU_DEP_1)
	s_cvt_u32_f32 s16, s16
	s_mul_f32 s17, s17, 0x4f7ffffe
	v_cmp_ne_u32_e32 vcc_lo, v5, v28
	v_readfirstlane_b32 s30, v13
	s_mul_i32 s2, s2, s16
	s_sub_co_i32 s31, 0, s36
	s_mul_hi_u32 s2, s16, s2
	v_cndmask_b32_e64 v32, 0, 1, vcc_lo
	s_mul_f32 s30, s30, 0x4f7ffffe
	s_add_co_i32 s2, s16, s2
	s_cvt_u32_f32 s16, s17
	s_sub_co_i32 s17, 0, s35
	v_add_nc_u32_e32 v9, v28, v32
	v_add_nc_u32_e32 v12, s19, v12
	s_cvt_u32_f32 s30, s30
	s_mul_i32 s17, s17, s16
	s_mov_b32 s3, 0
	v_dual_sub_nc_u32 v14, v5, v9 :: v_dual_max_i32 v5, 0, v31
	v_cmp_ne_u32_e32 vcc_lo, v12, v27
	s_mul_i32 s31, s31, s30
	s_mul_hi_u32 s17, s16, s17
	s_delay_alu instid0(VALU_DEP_2)
	v_dual_mov_b32 v17, v15 :: v_dual_add_nc_u32 v5, s20, v5
	v_cndmask_b32_e64 v33, 0, 1, vcc_lo
	s_mul_hi_u32 s31, s30, s31
	s_add_co_i32 s16, s16, s17
	s_mov_b32 s17, s3
	v_cmp_ne_u32_e32 vcc_lo, v5, v26
	v_add_nc_u32_e32 v9, v27, v33
	s_add_co_i32 s30, s30, s31
	s_mov_b32 s31, s3
	v_mov_b32_e32 v19, v15
	v_cndmask_b32_e64 v34, 0, 1, vcc_lo
	v_sub_nc_u32_e32 v16, v12, v9
	s_and_not1_b32 vcc_lo, exec_lo, s34
	s_delay_alu instid0(VALU_DEP_2) | instskip(NEXT) | instid1(VALU_DEP_1)
	v_add_nc_u32_e32 v9, v26, v34
	v_sub_nc_u32_e32 v18, v5, v9
	s_cbranch_vccnz .LBB3_13
; %bb.11:
	s_ashr_i32 s39, s5, 31
	s_mov_b32 s38, s5
	s_ashr_i32 s41, s6, 31
	s_mov_b32 s40, s6
	;; [unrolled: 2-line block ×3, first 2 shown]
	s_mul_u64 s[38:39], s[40:41], s[38:39]
	s_mov_b32 s37, s3
	s_mul_u64 s[38:39], s[38:39], s[42:43]
	s_delay_alu instid0(SALU_CYCLE_1) | instskip(SKIP_1) | instid1(VALU_DEP_1)
	v_mul_u64_e32 v[12:13], s[38:39], v[2:3]
	s_wait_kmcnt 0x0
	v_lshl_add_u64 v[12:13], v[12:13], 1, s[8:9]
	s_branch .LBB3_14
.LBB3_12:
                                        ; implicit-def: $vgpr4_vgpr5
	s_branch .LBB3_5
.LBB3_13:
	s_mov_b32 s37, -1
                                        ; implicit-def: $vgpr12_vgpr13
.LBB3_14:
	v_mul_u64_e32 v[24:25], s[2:3], v[14:15]
	v_mul_u64_e32 v[22:23], s[16:17], v[16:17]
	v_mul_u64_e32 v[20:21], s[30:31], v[18:19]
	s_load_b64 s[16:17], s[0:1], 0x10
	v_ashrrev_i32_e32 v9, 31, v8
	s_and_not1_b32 vcc_lo, exec_lo, s37
	s_cbranch_vccnz .LBB3_16
; %bb.15:
	s_wait_xcnt 0x0
	s_ashr_i32 s1, s5, 31
	s_mov_b32 s0, s5
	s_ashr_i32 s31, s4, 31
	s_mov_b32 s30, s4
	;; [unrolled: 2-line block ×3, first 2 shown]
	s_mul_u64 s[0:1], s[0:1], s[30:31]
	v_ashrrev_i32_e32 v5, 31, v4
	s_ashr_i32 s39, s7, 31
	s_mov_b32 s38, s7
	s_mul_u64 s[0:1], s[0:1], s[2:3]
	s_delay_alu instid0(SALU_CYCLE_1) | instskip(NEXT) | instid1(SALU_CYCLE_1)
	s_mul_u64 s[0:1], s[0:1], s[38:39]
	v_mul_u64_e32 v[12:13], s[0:1], v[4:5]
	s_wait_kmcnt 0x0
	s_delay_alu instid0(VALU_DEP_1) | instskip(NEXT) | instid1(VALU_DEP_1)
	v_lshl_add_u64 v[12:13], v[12:13], 1, s[8:9]
	v_lshl_add_u64 v[12:13], v[8:9], 1, v[12:13]
.LBB3_16:
	s_delay_alu instid0(VALU_DEP_4) | instskip(NEXT) | instid1(VALU_DEP_4)
	v_mul_lo_u32 v5, v25, s15
	v_mul_lo_u32 v15, v23, s35
	s_delay_alu instid0(VALU_DEP_4) | instskip(SKIP_1) | instid1(VALU_DEP_3)
	v_mul_lo_u32 v17, v21, s36
	v_add_nc_u32_e32 v19, 1, v25
	v_dual_sub_nc_u32 v5, v14, v5 :: v_dual_sub_nc_u32 v15, v16, v15
	v_add_nc_u32_e32 v14, 1, v23
	s_delay_alu instid0(VALU_DEP_2) | instskip(SKIP_1) | instid1(VALU_DEP_3)
	v_cmp_le_u32_e32 vcc_lo, s15, v5
	s_wait_xcnt 0x0
	v_cmp_le_u32_e64 s0, s35, v15
	v_sub_nc_u32_e32 v16, v18, v17
	v_subrev_nc_u32_e32 v17, s15, v5
	v_dual_add_nc_u32 v20, 1, v21 :: v_dual_cndmask_b32 v18, v25, v19, vcc_lo
	s_delay_alu instid0(VALU_DEP_4) | instskip(SKIP_1) | instid1(VALU_DEP_4)
	v_cndmask_b32_e64 v14, v23, v14, s0
	v_subrev_nc_u32_e32 v19, s35, v15
	v_cndmask_b32_e32 v5, v5, v17, vcc_lo
	v_cmp_le_u32_e32 vcc_lo, s36, v16
	s_delay_alu instid0(VALU_DEP_3) | instskip(NEXT) | instid1(VALU_DEP_3)
	v_dual_add_nc_u32 v17, 1, v18 :: v_dual_cndmask_b32 v15, v15, v19, s0
	v_cmp_le_u32_e64 s1, s15, v5
	v_cndmask_b32_e32 v20, v21, v20, vcc_lo
	v_subrev_nc_u32_e32 v21, s36, v16
	s_add_co_i32 s0, s12, -1
	v_dual_cndmask_b32 v5, v18, v17, s1 :: v_dual_add_nc_u32 v17, 1, v14
	s_delay_alu instid0(VALU_DEP_2) | instskip(SKIP_1) | instid1(VALU_DEP_3)
	v_dual_cndmask_b32 v16, v16, v21, vcc_lo :: v_dual_add_nc_u32 v18, 1, v20
	v_cmp_le_u32_e32 vcc_lo, s35, v15
	v_add_nc_u32_e32 v5, v5, v32
	s_mul_i32 s0, s21, s0
	s_delay_alu instid0(SALU_CYCLE_1)
	s_add_co_i32 s0, s0, 1
	v_cndmask_b32_e32 v14, v14, v17, vcc_lo
	v_cmp_le_u32_e32 vcc_lo, s36, v16
	v_mad_u32 v5, s21, v5, v28
	v_add_min_i32_e64 v25, s0, v29, s5
	s_mov_b32 s5, exec_lo
	v_dual_cndmask_b32 v15, v20, v18 :: v_dual_add_nc_u32 v14, v14, v33
	s_delay_alu instid0(VALU_DEP_1) | instskip(NEXT) | instid1(VALU_DEP_2)
	v_mul_lo_u32 v17, s22, v14
	v_add_nc_u32_e32 v15, v15, v34
	v_subrev_nc_u32_e32 v22, s18, v5
	s_delay_alu instid0(VALU_DEP_1) | instskip(NEXT) | instid1(VALU_DEP_4)
	v_mul_lo_u32 v18, v22, s6
	v_add_nc_u32_e32 v5, v17, v27
	s_delay_alu instid0(VALU_DEP_4) | instskip(NEXT) | instid1(VALU_DEP_2)
	v_mul_lo_u32 v16, s23, v15
	v_subrev_nc_u32_e32 v23, s19, v5
	s_delay_alu instid0(VALU_DEP_1) | instskip(NEXT) | instid1(VALU_DEP_3)
	v_add_nc_u32_e32 v5, v23, v18
	v_add_nc_u32_e32 v14, v16, v26
	s_delay_alu instid0(VALU_DEP_1) | instskip(NEXT) | instid1(VALU_DEP_1)
	v_subrev_nc_u32_e32 v24, s20, v14
	v_mad_u32 v14, v5, s7, v24
	v_mov_b32_e32 v5, 0xffffff80
	s_delay_alu instid0(VALU_DEP_2)
	v_ashrrev_i32_e32 v15, 31, v14
	v_cmpx_lt_i32_e64 v22, v25
	s_cbranch_execz .LBB3_28
; %bb.17:
	v_add3_u32 v5, v18, v27, v17
	s_add_co_i32 s1, s14, -1
	s_add_co_i32 s0, s13, -1
	s_mul_i32 s1, s23, s1
	s_mul_i32 s0, s22, s0
	v_subrev_nc_u32_e32 v5, s19, v5
	s_add_co_i32 s1, s1, 1
	s_add_co_i32 s0, s0, 1
	s_wait_kmcnt 0x0
	s_mul_i32 s8, s21, s7
	v_add_min_i32_e64 v27, s0, v30, s6
	v_mul_lo_u32 v5, s7, v5
	s_mul_i32 s8, s8, s6
	s_mul_i32 s9, s22, s7
	s_mov_b32 s6, s23
	s_mov_b32 s15, 0
	v_cmp_lt_i32_e32 vcc_lo, v23, v27
	s_delay_alu instid0(VALU_DEP_2)
	v_add3_u32 v5, v5, v26, v16
	v_add_min_i32_e64 v26, s1, v31, s7
	s_and_b32 s1, exec_lo, s33
	s_cselect_b32 s14, s4, 1
	s_ashr_i32 s7, s23, 31
	v_subrev_nc_u32_e32 v28, s20, v5
	v_cmp_lt_i32_e64 s0, v24, v26
	v_mov_b32_e32 v5, 0xffffff80
	s_mul_i32 s12, s8, s14
	s_mul_i32 s13, s9, s14
	v_mul_lo_u32 v29, s14, v28
	s_mul_i32 s14, s14, s23
	s_branch .LBB3_20
.LBB3_18:                               ;   in Loop: Header=BB3_20 Depth=1
	s_or_b32 exec_lo, exec_lo, s19
.LBB3_19:                               ;   in Loop: Header=BB3_20 Depth=1
	s_delay_alu instid0(SALU_CYCLE_1) | instskip(NEXT) | instid1(VALU_DEP_1)
	s_or_b32 exec_lo, exec_lo, s18
	v_dual_add_nc_u32 v22, s21, v22 :: v_dual_add_nc_u32 v29, s12, v29
	v_add_nc_u32_e32 v28, s8, v28
	s_delay_alu instid0(VALU_DEP_2) | instskip(SKIP_1) | instid1(SALU_CYCLE_1)
	v_cmp_ge_i32_e64 s1, v22, v25
	s_or_b32 s15, s1, s15
	s_and_not1_b32 exec_lo, exec_lo, s15
	s_cbranch_execz .LBB3_27
.LBB3_20:                               ; =>This Loop Header: Depth=1
                                        ;     Child Loop BB3_23 Depth 2
                                        ;       Child Loop BB3_25 Depth 3
	s_and_saveexec_b32 s18, vcc_lo
	s_cbranch_execz .LBB3_19
; %bb.21:                               ;   in Loop: Header=BB3_20 Depth=1
	s_delay_alu instid0(VALU_DEP_1)
	v_dual_mov_b32 v16, v28 :: v_dual_mov_b32 v30, v29
	v_mov_b32_e32 v31, v23
	s_mov_b32 s19, 0
	s_branch .LBB3_23
.LBB3_22:                               ;   in Loop: Header=BB3_23 Depth=2
	s_or_b32 exec_lo, exec_lo, s20
	v_dual_add_nc_u32 v31, s22, v31 :: v_dual_add_nc_u32 v30, s13, v30
	v_add_nc_u32_e32 v16, s9, v16
	s_delay_alu instid0(VALU_DEP_2) | instskip(SKIP_1) | instid1(SALU_CYCLE_1)
	v_cmp_ge_i32_e64 s1, v31, v27
	s_or_b32 s19, s1, s19
	s_and_not1_b32 exec_lo, exec_lo, s19
	s_cbranch_execz .LBB3_18
.LBB3_23:                               ;   Parent Loop BB3_20 Depth=1
                                        ; =>  This Loop Header: Depth=2
                                        ;       Child Loop BB3_25 Depth 3
	s_delay_alu instid0(VALU_DEP_2)
	v_ashrrev_i32_e32 v17, 31, v16
	s_and_saveexec_b32 s20, s0
	s_cbranch_execz .LBB3_22
; %bb.24:                               ;   in Loop: Header=BB3_23 Depth=2
	s_delay_alu instid0(VALU_DEP_1)
	v_mov_b64_e32 v[18:19], v[16:17]
	v_dual_mov_b32 v20, v30 :: v_dual_mov_b32 v17, v24
	s_mov_b32 s30, 0
.LBB3_25:                               ;   Parent Loop BB3_20 Depth=1
                                        ;     Parent Loop BB3_23 Depth=2
                                        ; =>    This Inner Loop Header: Depth=3
	s_delay_alu instid0(VALU_DEP_1) | instskip(NEXT) | instid1(VALU_DEP_1)
	v_ashrrev_i32_e32 v21, 31, v20
	v_lshl_add_u64 v[32:33], v[20:21], 1, v[12:13]
	v_add_nc_u32_e32 v20, s14, v20
	global_load_u16 v21, v[32:33], off
	s_wait_xcnt 0x0
	v_lshlrev_b32_e32 v32, 16, v5
	s_wait_loadcnt 0x0
	v_lshlrev_b32_e32 v33, 16, v21
	s_delay_alu instid0(VALU_DEP_1) | instskip(SKIP_2) | instid1(SALU_CYCLE_1)
	v_cmp_lt_f32_e64 s1, v32, v33
	v_cmp_u_f32_e64 s2, v33, v33
	s_or_b32 s1, s1, s2
	v_dual_add_nc_u32 v17, s23, v17 :: v_dual_cndmask_b32 v15, v15, v19, s1
	v_cndmask_b32_e64 v14, v14, v18, s1
	v_add_nc_u64_e32 v[18:19], s[6:7], v[18:19]
	v_cndmask_b32_e64 v5, v5, v21, s1
	s_delay_alu instid0(VALU_DEP_4) | instskip(SKIP_1) | instid1(SALU_CYCLE_1)
	v_cmp_ge_i32_e64 s3, v17, v26
	s_or_b32 s30, s3, s30
	s_and_not1_b32 exec_lo, exec_lo, s30
	s_cbranch_execnz .LBB3_25
; %bb.26:                               ;   in Loop: Header=BB3_23 Depth=2
	s_or_b32 exec_lo, exec_lo, s30
	s_branch .LBB3_22
.LBB3_27:
	s_or_b32 exec_lo, exec_lo, s15
.LBB3_28:
	s_delay_alu instid0(SALU_CYCLE_1) | instskip(NEXT) | instid1(SALU_CYCLE_1)
	s_or_b32 exec_lo, exec_lo, s5
	s_and_b32 vcc_lo, exec_lo, s34
	s_cbranch_vccz .LBB3_30
; %bb.29:
	v_mad_nc_u64_u32 v[12:13], v2, s24, v[6:7]
	s_delay_alu instid0(VALU_DEP_1) | instskip(NEXT) | instid1(VALU_DEP_2)
	v_mad_u32 v3, v3, s24, v13
	v_mad_nc_u64_u32 v[16:17], v12, s26, v[10:11]
	s_delay_alu instid0(VALU_DEP_2) | instskip(NEXT) | instid1(VALU_DEP_1)
	v_mad_u32 v2, v2, s25, v3
	v_mad_u32 v2, v2, s26, v17
	s_delay_alu instid0(VALU_DEP_1) | instskip(NEXT) | instid1(VALU_DEP_4)
	v_mad_u32 v12, v12, s27, v2
	v_mad_nc_u64_u32 v[2:3], v16, s28, v[0:1]
	s_delay_alu instid0(VALU_DEP_1) | instskip(NEXT) | instid1(VALU_DEP_1)
	v_mad_u32 v3, v12, s28, v3
	v_mad_u32 v3, v16, s29, v3
	s_cbranch_execz .LBB3_31
	s_branch .LBB3_32
.LBB3_30:
                                        ; implicit-def: $vgpr2_vgpr3
.LBB3_31:
	v_mad_nc_i64_i32 v[2:3], v4, s24, v[6:7]
	s_ashr_i32 s0, s4, 31
	s_delay_alu instid0(VALU_DEP_1) | instskip(NEXT) | instid1(VALU_DEP_1)
	v_mad_nc_u64_u32 v[6:7], v2, s26, v[10:11]
	v_mad_u32 v3, v3, s26, v7
	s_delay_alu instid0(VALU_DEP_2) | instskip(NEXT) | instid1(VALU_DEP_2)
	v_mad_nc_u64_u32 v[0:1], v6, s28, v[0:1]
	v_mad_u32 v2, v2, s27, v3
	s_delay_alu instid0(VALU_DEP_1) | instskip(NEXT) | instid1(VALU_DEP_3)
	v_mad_u32 v1, v2, s28, v1
	v_mad_nc_u64_u32 v[2:3], v0, s4, v[8:9]
	s_delay_alu instid0(VALU_DEP_2) | instskip(NEXT) | instid1(VALU_DEP_1)
	v_mad_u32 v1, v6, s29, v1
	v_mad_u32 v1, v1, s4, v3
	s_delay_alu instid0(VALU_DEP_1)
	v_mad_u32 v3, v0, s0, v1
.LBB3_32:
	s_wait_kmcnt 0x0
	s_delay_alu instid0(VALU_DEP_1)
	v_lshl_add_u64 v[0:1], v[2:3], 1, s[10:11]
	v_lshl_add_u64 v[2:3], v[2:3], 3, s[16:17]
	global_store_b16 v[0:1], v5, off
	global_store_b64 v[2:3], v[14:15], off
.LBB3_33:
	s_endpgm
	.section	.rodata,"a",@progbits
	.p2align	6, 0x0
	.amdhsa_kernel _ZN2at6native12_GLOBAL__N_140max_pool3d_with_indices_single_out_frameIN3c108BFloat16EEEvPKT_PS5_Pliiiiiiiiiiiiiiiiiiiiib
		.amdhsa_group_segment_fixed_size 0
		.amdhsa_private_segment_fixed_size 0
		.amdhsa_kernarg_size 368
		.amdhsa_user_sgpr_count 2
		.amdhsa_user_sgpr_dispatch_ptr 0
		.amdhsa_user_sgpr_queue_ptr 0
		.amdhsa_user_sgpr_kernarg_segment_ptr 1
		.amdhsa_user_sgpr_dispatch_id 0
		.amdhsa_user_sgpr_kernarg_preload_length 0
		.amdhsa_user_sgpr_kernarg_preload_offset 0
		.amdhsa_user_sgpr_private_segment_size 0
		.amdhsa_wavefront_size32 1
		.amdhsa_uses_dynamic_stack 0
		.amdhsa_enable_private_segment 0
		.amdhsa_system_sgpr_workgroup_id_x 1
		.amdhsa_system_sgpr_workgroup_id_y 1
		.amdhsa_system_sgpr_workgroup_id_z 1
		.amdhsa_system_sgpr_workgroup_info 0
		.amdhsa_system_vgpr_workitem_id 2
		.amdhsa_next_free_vgpr 35
		.amdhsa_next_free_sgpr 44
		.amdhsa_named_barrier_count 0
		.amdhsa_reserve_vcc 1
		.amdhsa_float_round_mode_32 0
		.amdhsa_float_round_mode_16_64 0
		.amdhsa_float_denorm_mode_32 3
		.amdhsa_float_denorm_mode_16_64 3
		.amdhsa_fp16_overflow 0
		.amdhsa_memory_ordered 1
		.amdhsa_forward_progress 1
		.amdhsa_inst_pref_size 24
		.amdhsa_round_robin_scheduling 0
		.amdhsa_exception_fp_ieee_invalid_op 0
		.amdhsa_exception_fp_denorm_src 0
		.amdhsa_exception_fp_ieee_div_zero 0
		.amdhsa_exception_fp_ieee_overflow 0
		.amdhsa_exception_fp_ieee_underflow 0
		.amdhsa_exception_fp_ieee_inexact 0
		.amdhsa_exception_int_div_zero 0
	.end_amdhsa_kernel
	.section	.text._ZN2at6native12_GLOBAL__N_140max_pool3d_with_indices_single_out_frameIN3c108BFloat16EEEvPKT_PS5_Pliiiiiiiiiiiiiiiiiiiiib,"axG",@progbits,_ZN2at6native12_GLOBAL__N_140max_pool3d_with_indices_single_out_frameIN3c108BFloat16EEEvPKT_PS5_Pliiiiiiiiiiiiiiiiiiiiib,comdat
.Lfunc_end3:
	.size	_ZN2at6native12_GLOBAL__N_140max_pool3d_with_indices_single_out_frameIN3c108BFloat16EEEvPKT_PS5_Pliiiiiiiiiiiiiiiiiiiiib, .Lfunc_end3-_ZN2at6native12_GLOBAL__N_140max_pool3d_with_indices_single_out_frameIN3c108BFloat16EEEvPKT_PS5_Pliiiiiiiiiiiiiiiiiiiiib
                                        ; -- End function
	.set _ZN2at6native12_GLOBAL__N_140max_pool3d_with_indices_single_out_frameIN3c108BFloat16EEEvPKT_PS5_Pliiiiiiiiiiiiiiiiiiiiib.num_vgpr, 35
	.set _ZN2at6native12_GLOBAL__N_140max_pool3d_with_indices_single_out_frameIN3c108BFloat16EEEvPKT_PS5_Pliiiiiiiiiiiiiiiiiiiiib.num_agpr, 0
	.set _ZN2at6native12_GLOBAL__N_140max_pool3d_with_indices_single_out_frameIN3c108BFloat16EEEvPKT_PS5_Pliiiiiiiiiiiiiiiiiiiiib.numbered_sgpr, 44
	.set _ZN2at6native12_GLOBAL__N_140max_pool3d_with_indices_single_out_frameIN3c108BFloat16EEEvPKT_PS5_Pliiiiiiiiiiiiiiiiiiiiib.num_named_barrier, 0
	.set _ZN2at6native12_GLOBAL__N_140max_pool3d_with_indices_single_out_frameIN3c108BFloat16EEEvPKT_PS5_Pliiiiiiiiiiiiiiiiiiiiib.private_seg_size, 0
	.set _ZN2at6native12_GLOBAL__N_140max_pool3d_with_indices_single_out_frameIN3c108BFloat16EEEvPKT_PS5_Pliiiiiiiiiiiiiiiiiiiiib.uses_vcc, 1
	.set _ZN2at6native12_GLOBAL__N_140max_pool3d_with_indices_single_out_frameIN3c108BFloat16EEEvPKT_PS5_Pliiiiiiiiiiiiiiiiiiiiib.uses_flat_scratch, 0
	.set _ZN2at6native12_GLOBAL__N_140max_pool3d_with_indices_single_out_frameIN3c108BFloat16EEEvPKT_PS5_Pliiiiiiiiiiiiiiiiiiiiib.has_dyn_sized_stack, 0
	.set _ZN2at6native12_GLOBAL__N_140max_pool3d_with_indices_single_out_frameIN3c108BFloat16EEEvPKT_PS5_Pliiiiiiiiiiiiiiiiiiiiib.has_recursion, 0
	.set _ZN2at6native12_GLOBAL__N_140max_pool3d_with_indices_single_out_frameIN3c108BFloat16EEEvPKT_PS5_Pliiiiiiiiiiiiiiiiiiiiib.has_indirect_call, 0
	.section	.AMDGPU.csdata,"",@progbits
; Kernel info:
; codeLenInByte = 3028
; TotalNumSgprs: 46
; NumVgprs: 35
; ScratchSize: 0
; MemoryBound: 0
; FloatMode: 240
; IeeeMode: 1
; LDSByteSize: 0 bytes/workgroup (compile time only)
; SGPRBlocks: 0
; VGPRBlocks: 2
; NumSGPRsForWavesPerEU: 46
; NumVGPRsForWavesPerEU: 35
; NamedBarCnt: 0
; Occupancy: 16
; WaveLimiterHint : 0
; COMPUTE_PGM_RSRC2:SCRATCH_EN: 0
; COMPUTE_PGM_RSRC2:USER_SGPR: 2
; COMPUTE_PGM_RSRC2:TRAP_HANDLER: 0
; COMPUTE_PGM_RSRC2:TGID_X_EN: 1
; COMPUTE_PGM_RSRC2:TGID_Y_EN: 1
; COMPUTE_PGM_RSRC2:TGID_Z_EN: 1
; COMPUTE_PGM_RSRC2:TIDIG_COMP_CNT: 2
	.section	.text._ZN2at6native12_GLOBAL__N_149max_pool3d_with_indices_backward_single_out_frameIdEEvPT_PKS3_PKliiiiiiiiib,"axG",@progbits,_ZN2at6native12_GLOBAL__N_149max_pool3d_with_indices_backward_single_out_frameIdEEvPT_PKS3_PKliiiiiiiiib,comdat
	.globl	_ZN2at6native12_GLOBAL__N_149max_pool3d_with_indices_backward_single_out_frameIdEEvPT_PKS3_PKliiiiiiiiib ; -- Begin function _ZN2at6native12_GLOBAL__N_149max_pool3d_with_indices_backward_single_out_frameIdEEvPT_PKS3_PKliiiiiiiiib
	.p2align	8
	.type	_ZN2at6native12_GLOBAL__N_149max_pool3d_with_indices_backward_single_out_frameIdEEvPT_PKS3_PKliiiiiiiiib,@function
_ZN2at6native12_GLOBAL__N_149max_pool3d_with_indices_backward_single_out_frameIdEEvPT_PKS3_PKliiiiiiiiib: ; @_ZN2at6native12_GLOBAL__N_149max_pool3d_with_indices_backward_single_out_frameIdEEvPT_PKS3_PKliiiiiiiiib
; %bb.0:
	s_clause 0x2
	s_load_b64 s[2:3], s[0:1], 0x38
	s_load_b64 s[14:15], s[0:1], 0x4c
	s_load_b256 s[4:11], s[0:1], 0x18
	s_getreg_b32 s20, hwreg(HW_REG_IB_STS2, 6, 4)
	v_bfe_u32 v1, v0, 20, 10
                                        ; implicit-def: $vgpr8_vgpr9
                                        ; implicit-def: $vgpr2_vgpr3
	s_wait_kmcnt 0x0
	s_bitcmp1_b32 s3, 0
	s_cselect_b32 s21, -1, 0
	s_bfe_u32 s3, ttmp6, 0x40014
	s_lshr_b32 s12, ttmp7, 16
	s_add_co_i32 s3, s3, 1
	s_bfe_u32 s13, ttmp6, 0x40008
	s_mul_i32 s3, s12, s3
	s_and_b32 s15, s15, 0xffff
	s_add_co_i32 s13, s13, s3
	s_cmp_eq_u32 s20, 0
	s_cselect_b32 s3, s12, s13
	s_mov_b32 s12, s9
	s_mul_i32 s3, s3, s15
	s_and_b32 vcc_lo, exec_lo, s21
	v_add3_u32 v1, s3, s2, v1
	s_mov_b32 s2, -1
	s_cbranch_vccnz .LBB4_2
; %bb.1:
	s_cvt_f32_u32 s2, s9
	s_sub_co_i32 s3, 0, s9
	v_mov_b32_e32 v9, 0
	s_delay_alu instid0(SALU_CYCLE_1) | instskip(SKIP_1) | instid1(TRANS32_DEP_1)
	v_rcp_iflag_f32_e32 v2, s2
	v_nop
	v_readfirstlane_b32 s2, v2
	s_mul_f32 s2, s2, 0x4f7ffffe
	s_delay_alu instid0(SALU_CYCLE_3) | instskip(NEXT) | instid1(SALU_CYCLE_3)
	s_cvt_u32_f32 s2, s2
	s_mul_i32 s3, s3, s2
	s_delay_alu instid0(SALU_CYCLE_1) | instskip(NEXT) | instid1(SALU_CYCLE_1)
	s_mul_hi_u32 s3, s2, s3
	s_add_co_i32 s2, s2, s3
	s_delay_alu instid0(SALU_CYCLE_1) | instskip(SKIP_1) | instid1(VALU_DEP_1)
	v_mul_hi_u32 v2, v1, s2
	s_mov_b32 s2, 0
	v_mul_lo_u32 v3, v2, s9
	s_delay_alu instid0(VALU_DEP_1) | instskip(NEXT) | instid1(VALU_DEP_1)
	v_dual_add_nc_u32 v4, 1, v2 :: v_dual_sub_nc_u32 v3, v1, v3
	v_subrev_nc_u32_e32 v5, s9, v3
	v_cmp_le_u32_e32 vcc_lo, s9, v3
	s_delay_alu instid0(VALU_DEP_2) | instskip(NEXT) | instid1(VALU_DEP_1)
	v_dual_cndmask_b32 v2, v2, v4 :: v_dual_cndmask_b32 v3, v3, v5
	v_add_nc_u32_e32 v4, 1, v2
	s_delay_alu instid0(VALU_DEP_2) | instskip(NEXT) | instid1(VALU_DEP_2)
	v_cmp_le_u32_e32 vcc_lo, s9, v3
	v_cndmask_b32_e32 v2, v2, v4, vcc_lo
	s_delay_alu instid0(VALU_DEP_1) | instskip(NEXT) | instid1(VALU_DEP_1)
	v_mul_lo_u32 v3, v2, s9
	v_sub_nc_u32_e32 v8, v1, v3
	v_mov_b32_e32 v3, v9
.LBB4_2:
	v_dual_mov_b32 v6, 0 :: v_dual_mov_b32 v4, 0
	s_and_not1_b32 vcc_lo, exec_lo, s2
	s_cbranch_vccnz .LBB4_7
; %bb.3:
	s_cvt_f32_u32 s2, s4
	s_sub_co_i32 s3, 0, s4
	s_ashr_i32 s13, s9, 31
	s_delay_alu instid0(SALU_CYCLE_1) | instskip(SKIP_1) | instid1(TRANS32_DEP_1)
	v_rcp_iflag_f32_e32 v2, s2
	v_nop
	v_readfirstlane_b32 s2, v2
	s_mul_f32 s2, s2, 0x4f7ffffe
	s_delay_alu instid0(SALU_CYCLE_3) | instskip(NEXT) | instid1(SALU_CYCLE_3)
	s_cvt_u32_f32 s2, s2
	s_mul_i32 s3, s3, s2
	s_delay_alu instid0(SALU_CYCLE_1) | instskip(NEXT) | instid1(SALU_CYCLE_1)
	s_mul_hi_u32 s3, s2, s3
	s_add_co_i32 s2, s2, s3
	s_delay_alu instid0(SALU_CYCLE_1) | instskip(SKIP_1) | instid1(SALU_CYCLE_1)
	v_mul_hi_u32 v2, v1, s2
	s_and_b64 s[2:3], s[12:13], 0xffffffff00000000
	s_cmp_lg_u64 s[2:3], 0
	s_mov_b32 s3, 0
	s_delay_alu instid0(VALU_DEP_1) | instskip(NEXT) | instid1(VALU_DEP_1)
	v_mul_lo_u32 v3, v2, s4
	v_dual_add_nc_u32 v4, 1, v2 :: v_dual_sub_nc_u32 v3, v1, v3
	s_delay_alu instid0(VALU_DEP_1) | instskip(SKIP_1) | instid1(VALU_DEP_2)
	v_subrev_nc_u32_e32 v5, s4, v3
	v_cmp_le_u32_e32 vcc_lo, s4, v3
	v_dual_cndmask_b32 v2, v2, v4, vcc_lo :: v_dual_cndmask_b32 v4, v3, v5, vcc_lo
	s_delay_alu instid0(VALU_DEP_1) | instskip(NEXT) | instid1(VALU_DEP_2)
	v_dual_mov_b32 v3, 0 :: v_dual_add_nc_u32 v5, 1, v2
	v_cmp_le_u32_e32 vcc_lo, s4, v4
	s_delay_alu instid0(VALU_DEP_2)
	v_cndmask_b32_e32 v2, v2, v5, vcc_lo
	s_cbranch_scc0 .LBB4_12
; %bb.4:
	s_ashr_i32 s16, s13, 31
	s_delay_alu instid0(VALU_DEP_1)
	v_add_nc_u64_e32 v[4:5], 0, v[2:3]
	s_mov_b32 s17, s16
	v_mov_b32_e32 v7, v3
	s_add_nc_u64 s[18:19], s[12:13], s[16:17]
	v_mov_b32_e32 v9, v3
	s_xor_b64 s[18:19], s[18:19], s[16:17]
	v_mov_b32_e32 v13, v3
	s_cvt_f32_u32 s2, s18
	s_cvt_f32_u32 s15, s19
	s_sub_nc_u64 s[24:25], 0, s[18:19]
	v_dual_mov_b32 v6, v4 :: v_dual_mov_b32 v8, v5
	s_delay_alu instid0(SALU_CYCLE_1) | instskip(NEXT) | instid1(SALU_CYCLE_3)
	s_fmamk_f32 s2, s15, 0x4f800000, s2
	v_s_rcp_f32 s2, s2
	s_delay_alu instid0(TRANS32_DEP_1) | instskip(NEXT) | instid1(SALU_CYCLE_3)
	s_mul_f32 s2, s2, 0x5f7ffffc
	s_mul_f32 s15, s2, 0x2f800000
	s_delay_alu instid0(SALU_CYCLE_3) | instskip(NEXT) | instid1(SALU_CYCLE_3)
	s_trunc_f32 s15, s15
	s_fmamk_f32 s2, s15, 0xcf800000, s2
	s_cvt_u32_f32 s23, s15
	s_delay_alu instid0(SALU_CYCLE_2) | instskip(NEXT) | instid1(SALU_CYCLE_3)
	s_cvt_u32_f32 s22, s2
	s_mul_u64 s[26:27], s[24:25], s[22:23]
	s_delay_alu instid0(SALU_CYCLE_1)
	s_mul_hi_u32 s29, s22, s27
	s_mul_i32 s28, s22, s27
	s_mul_hi_u32 s2, s22, s26
	s_mul_i32 s17, s23, s26
	s_add_nc_u64 s[28:29], s[2:3], s[28:29]
	s_mul_hi_u32 s15, s23, s26
	s_mul_hi_u32 s30, s23, s27
	s_add_co_u32 s2, s28, s17
	s_add_co_ci_u32 s2, s29, s15
	s_mul_i32 s26, s23, s27
	s_add_co_ci_u32 s27, s30, 0
	s_delay_alu instid0(SALU_CYCLE_1) | instskip(NEXT) | instid1(SALU_CYCLE_1)
	s_add_nc_u64 s[26:27], s[2:3], s[26:27]
	s_add_co_u32 s22, s22, s26
	s_cselect_b32 s2, -1, 0
	s_delay_alu instid0(SALU_CYCLE_1) | instskip(SKIP_1) | instid1(SALU_CYCLE_1)
	s_cmp_lg_u32 s2, 0
	s_add_co_ci_u32 s23, s23, s27
	s_mul_u64 s[24:25], s[24:25], s[22:23]
	s_delay_alu instid0(SALU_CYCLE_1)
	s_mul_hi_u32 s27, s22, s25
	s_mul_i32 s26, s22, s25
	s_mul_hi_u32 s2, s22, s24
	s_mul_i32 s17, s23, s24
	s_add_nc_u64 s[26:27], s[2:3], s[26:27]
	s_mul_hi_u32 s15, s23, s24
	s_mul_hi_u32 s28, s23, s25
	s_add_co_u32 s2, s26, s17
	s_add_co_ci_u32 s2, s27, s15
	s_mul_i32 s24, s23, s25
	s_add_co_ci_u32 s25, s28, 0
	s_delay_alu instid0(SALU_CYCLE_1) | instskip(NEXT) | instid1(SALU_CYCLE_1)
	s_add_nc_u64 s[24:25], s[2:3], s[24:25]
	s_add_co_u32 s22, s22, s24
	s_cselect_b32 s2, -1, 0
	v_mul_hi_u32 v12, v4, s22
	s_cmp_lg_u32 s2, 0
	s_add_co_ci_u32 s2, s23, s25
	s_mov_b64 s[24:25], 0xffffffff
	v_mul_u64_e32 v[6:7], s[2:3], v[6:7]
	s_and_b64 s[24:25], s[22:23], s[24:25]
	s_delay_alu instid0(SALU_CYCLE_1) | instskip(SKIP_1) | instid1(VALU_DEP_3)
	v_mul_u64_e32 v[10:11], s[24:25], v[8:9]
	v_mul_u64_e32 v[8:9], s[2:3], v[8:9]
	v_add_nc_u64_e32 v[6:7], v[12:13], v[6:7]
	s_delay_alu instid0(VALU_DEP_1) | instskip(NEXT) | instid1(VALU_DEP_2)
	v_add_co_u32 v6, vcc_lo, v6, v10
	v_add_co_ci_u32_e32 v12, vcc_lo, v7, v11, vcc_lo
	s_delay_alu instid0(VALU_DEP_4) | instskip(NEXT) | instid1(VALU_DEP_1)
	v_add_co_ci_u32_e32 v9, vcc_lo, 0, v9, vcc_lo
	v_add_nc_u64_e32 v[6:7], v[12:13], v[8:9]
	s_delay_alu instid0(VALU_DEP_1) | instskip(NEXT) | instid1(VALU_DEP_1)
	v_mul_u64_e32 v[8:9], s[18:19], v[6:7]
	v_sub_nc_u32_e32 v10, v5, v9
	s_delay_alu instid0(VALU_DEP_2) | instskip(NEXT) | instid1(VALU_DEP_1)
	v_sub_co_u32 v4, vcc_lo, v4, v8
	v_sub_co_ci_u32_e64 v9, null, v5, v9, vcc_lo
	s_delay_alu instid0(VALU_DEP_3) | instskip(NEXT) | instid1(VALU_DEP_3)
	v_subrev_co_ci_u32_e64 v8, null, s19, v10, vcc_lo
	v_sub_co_u32 v12, s2, v4, s18
	v_cmp_le_u32_e32 vcc_lo, s18, v4
	s_delay_alu instid0(VALU_DEP_3) | instskip(NEXT) | instid1(VALU_DEP_3)
	v_subrev_co_ci_u32_e64 v8, null, 0, v8, s2
	v_cmp_le_u32_e64 s2, s18, v12
	v_add_nc_u64_e32 v[10:11], 2, v[6:7]
	v_cndmask_b32_e64 v14, 0, -1, vcc_lo
	s_delay_alu instid0(VALU_DEP_4) | instskip(SKIP_3) | instid1(VALU_DEP_1)
	v_cmp_eq_u32_e32 vcc_lo, s19, v8
	v_add_nc_u64_e32 v[4:5], 1, v[6:7]
	v_cndmask_b32_e64 v12, 0, -1, s2
	v_cmp_le_u32_e64 s2, s19, v8
	v_cndmask_b32_e64 v13, 0, -1, s2
	v_cmp_eq_u32_e64 s2, s19, v9
	s_delay_alu instid0(VALU_DEP_2) | instskip(SKIP_2) | instid1(VALU_DEP_3)
	v_cndmask_b32_e32 v8, v13, v12, vcc_lo
	v_cmp_le_u32_e32 vcc_lo, s19, v9
	v_cndmask_b32_e64 v12, 0, -1, vcc_lo
	v_cmp_ne_u32_e32 vcc_lo, 0, v8
	s_delay_alu instid0(VALU_DEP_2) | instskip(SKIP_1) | instid1(VALU_DEP_2)
	v_dual_cndmask_b32 v8, v12, v14, s2 :: v_dual_cndmask_b32 v5, v5, v11, vcc_lo
	v_cndmask_b32_e32 v4, v4, v10, vcc_lo
	v_cmp_ne_u32_e32 vcc_lo, 0, v8
	s_delay_alu instid0(VALU_DEP_2) | instskip(SKIP_1) | instid1(VALU_DEP_2)
	v_dual_cndmask_b32 v7, v7, v5 :: v_dual_cndmask_b32 v6, v6, v4
	v_dual_mov_b32 v5, s16 :: v_dual_mov_b32 v4, s16
	v_xor_b32_e32 v7, s16, v7
	s_delay_alu instid0(VALU_DEP_3) | instskip(NEXT) | instid1(VALU_DEP_1)
	v_xor_b32_e32 v6, s16, v6
	v_sub_nc_u64_e32 v[4:5], v[6:7], v[4:5]
	s_and_not1_b32 vcc_lo, exec_lo, s3
	s_cbranch_vccnz .LBB4_6
.LBB4_5:
	v_cvt_f32_u32_e32 v4, s12
	s_sub_co_i32 s2, 0, s12
	s_delay_alu instid0(VALU_DEP_1) | instskip(SKIP_1) | instid1(TRANS32_DEP_1)
	v_rcp_iflag_f32_e32 v4, v4
	v_nop
	v_mul_f32_e32 v4, 0x4f7ffffe, v4
	s_delay_alu instid0(VALU_DEP_1) | instskip(NEXT) | instid1(VALU_DEP_1)
	v_cvt_u32_f32_e32 v4, v4
	v_mul_lo_u32 v5, s2, v4
	s_delay_alu instid0(VALU_DEP_1) | instskip(NEXT) | instid1(VALU_DEP_1)
	v_mul_hi_u32 v5, v4, v5
	v_add_nc_u32_e32 v4, v4, v5
	s_delay_alu instid0(VALU_DEP_1) | instskip(NEXT) | instid1(VALU_DEP_1)
	v_mul_hi_u32 v4, v2, v4
	v_mul_lo_u32 v5, v4, s12
	s_delay_alu instid0(VALU_DEP_1) | instskip(NEXT) | instid1(VALU_DEP_1)
	v_dual_add_nc_u32 v6, 1, v4 :: v_dual_sub_nc_u32 v5, v2, v5
	v_subrev_nc_u32_e32 v7, s12, v5
	v_cmp_le_u32_e32 vcc_lo, s12, v5
	s_delay_alu instid0(VALU_DEP_2) | instskip(NEXT) | instid1(VALU_DEP_1)
	v_dual_cndmask_b32 v5, v5, v7 :: v_dual_cndmask_b32 v4, v4, v6
	v_cmp_le_u32_e32 vcc_lo, s12, v5
	s_delay_alu instid0(VALU_DEP_2) | instskip(NEXT) | instid1(VALU_DEP_1)
	v_dual_mov_b32 v5, 0 :: v_dual_add_nc_u32 v6, 1, v4
	v_cndmask_b32_e32 v4, v4, v6, vcc_lo
.LBB4_6:
	s_delay_alu instid0(VALU_DEP_1) | instskip(SKIP_1) | instid1(VALU_DEP_2)
	v_mul_u64_e32 v[6:7], s[12:13], v[4:5]
	v_mul_lo_u32 v5, v2, s4
	v_sub_nc_u64_e32 v[8:9], v[2:3], v[6:7]
	s_delay_alu instid0(VALU_DEP_2)
	v_sub_nc_u32_e32 v6, v1, v5
.LBB4_7:
	s_bfe_u32 s2, ttmp6, 0x40010
	s_and_b32 s3, ttmp7, 0xffff
	s_add_co_i32 s2, s2, 1
	s_bfe_u32 s13, ttmp6, 0x40004
	s_mul_i32 s2, s3, s2
	s_xor_b32 s18, s21, -1
	s_lshr_b32 s15, s14, 16
	s_add_co_i32 s13, s13, s2
	v_bfe_u32 v1, v0, 10, 10
	s_cmp_eq_u32 s20, 0
	v_mov_b32_e32 v11, 0
	s_cselect_b32 s2, s3, s13
	s_ashr_i32 s17, s10, 31
	v_mad_u32 v10, s2, s15, v1
	s_mov_b32 s16, s10
	s_mov_b32 s2, exec_lo
	s_delay_alu instid0(VALU_DEP_1)
	v_cmpx_gt_i64_e64 s[16:17], v[10:11]
	s_cbranch_execz .LBB4_22
; %bb.8:
	s_bfe_u32 s2, ttmp6, 0x4000c
	s_and_b32 s3, ttmp6, 15
	s_add_co_i32 s2, s2, 1
	s_and_b32 s10, s14, 0xffff
	s_mul_i32 s2, ttmp9, s2
	v_and_b32_e32 v0, 0x3ff, v0
	s_add_co_i32 s3, s3, s2
	s_cmp_eq_u32 s20, 0
	v_mov_b32_e32 v13, v11
	s_cselect_b32 s2, ttmp9, s3
	s_ashr_i32 s15, s11, 31
	v_mad_u32 v12, s2, s10, v0
	s_mov_b32 s14, s11
	s_delay_alu instid0(VALU_DEP_1) | instid1(SALU_CYCLE_1)
	v_cmp_gt_i64_e32 vcc_lo, s[14:15], v[12:13]
	s_and_b32 exec_lo, exec_lo, vcc_lo
	s_cbranch_execz .LBB4_22
; %bb.9:
	s_ashr_i32 s13, s9, 31
	v_cmp_gt_i32_e64 s2, s8, v4
	v_cmp_gt_i64_e32 vcc_lo, s[12:13], v[8:9]
	v_cmp_gt_i32_e64 s3, s4, v6
	s_and_b32 s2, vcc_lo, s2
	s_delay_alu instid0(SALU_CYCLE_1) | instskip(NEXT) | instid1(SALU_CYCLE_1)
	s_and_b32 s2, s3, s2
	s_and_b32 exec_lo, exec_lo, s2
	s_cbranch_execz .LBB4_22
; %bb.10:
	v_cndmask_b32_e64 v5, 0, 1, s18
	s_and_not1_b32 vcc_lo, exec_lo, s18
	s_cbranch_vccnz .LBB4_13
; %bb.11:
	v_mad_nc_u64_u32 v[0:1], v2, s12, v[8:9]
	s_delay_alu instid0(VALU_DEP_1) | instskip(NEXT) | instid1(VALU_DEP_2)
	v_mad_u32 v1, v3, s12, v1
	v_mad_nc_u64_u32 v[14:15], v0, s16, v[10:11]
	s_delay_alu instid0(VALU_DEP_2) | instskip(NEXT) | instid1(VALU_DEP_1)
	v_mad_u32 v1, v2, s13, v1
	v_mad_u32 v1, v1, s16, v15
	s_delay_alu instid0(VALU_DEP_1) | instskip(NEXT) | instid1(VALU_DEP_4)
	v_mad_u32 v7, v0, s17, v1
	v_mad_nc_u64_u32 v[0:1], v14, s14, v[12:13]
	s_delay_alu instid0(VALU_DEP_1) | instskip(NEXT) | instid1(VALU_DEP_1)
	v_mad_u32 v1, v7, s14, v1
	v_mad_u32 v1, v14, s15, v1
	s_cbranch_execz .LBB4_14
	s_branch .LBB4_15
.LBB4_12:
                                        ; implicit-def: $vgpr4_vgpr5
	s_branch .LBB4_5
.LBB4_13:
                                        ; implicit-def: $vgpr0_vgpr1
.LBB4_14:
	v_mad_nc_i64_i32 v[0:1], v4, s12, v[8:9]
	v_ashrrev_i32_e32 v7, 31, v6
	s_ashr_i32 s2, s4, 31
	s_delay_alu instid0(VALU_DEP_2) | instskip(NEXT) | instid1(VALU_DEP_1)
	v_mad_nc_u64_u32 v[8:9], v0, s16, v[10:11]
	v_mad_u32 v1, v1, s16, v9
	s_delay_alu instid0(VALU_DEP_2) | instskip(NEXT) | instid1(VALU_DEP_2)
	v_mad_nc_u64_u32 v[10:11], v8, s14, v[12:13]
	v_mad_u32 v0, v0, s17, v1
	s_delay_alu instid0(VALU_DEP_1) | instskip(NEXT) | instid1(VALU_DEP_1)
	v_mad_u32 v0, v0, s14, v11
	v_mad_u32 v8, v8, s15, v0
	s_delay_alu instid0(VALU_DEP_4) | instskip(NEXT) | instid1(VALU_DEP_1)
	v_mad_nc_u64_u32 v[0:1], v10, s4, v[6:7]
	v_mad_u32 v1, v8, s4, v1
	s_delay_alu instid0(VALU_DEP_1)
	v_mad_u32 v1, v10, s2, v1
.LBB4_15:
	s_load_b64 s[2:3], s[0:1], 0x10
	s_wait_kmcnt 0x0
	s_delay_alu instid0(VALU_DEP_1)
	v_lshl_add_u64 v[8:9], v[0:1], 3, s[2:3]
	global_load_b64 v[8:9], v[8:9], off
	s_wait_loadcnt 0x0
	v_cmp_ne_u64_e32 vcc_lo, -1, v[8:9]
	s_and_b32 exec_lo, exec_lo, vcc_lo
	s_cbranch_execz .LBB4_22
; %bb.16:
	s_load_b128 s[0:3], s[0:1], 0x0
	v_cmp_ne_u32_e32 vcc_lo, 1, v5
	s_cbranch_vccnz .LBB4_18
; %bb.17:
	s_ashr_i32 s9, s5, 31
	s_mov_b32 s8, s5
	s_ashr_i32 s11, s6, 31
	s_mov_b32 s10, s6
	;; [unrolled: 2-line block ×3, first 2 shown]
	s_mul_u64 s[8:9], s[10:11], s[8:9]
	s_delay_alu instid0(SALU_CYCLE_1) | instskip(NEXT) | instid1(SALU_CYCLE_1)
	s_mul_u64 s[8:9], s[8:9], s[12:13]
	v_mul_u64_e32 v[2:3], s[8:9], v[2:3]
	s_mov_b32 s8, 0
	s_branch .LBB4_19
.LBB4_18:
	s_mov_b32 s8, -1
                                        ; implicit-def: $vgpr2_vgpr3
.LBB4_19:
	s_delay_alu instid0(SALU_CYCLE_1)
	s_and_not1_b32 vcc_lo, exec_lo, s8
	s_cbranch_vccnz .LBB4_21
; %bb.20:
	s_ashr_i32 s9, s5, 31
	s_mov_b32 s8, s5
	s_ashr_i32 s11, s6, 31
	s_mov_b32 s10, s6
	;; [unrolled: 2-line block ×3, first 2 shown]
	s_mul_u64 s[6:7], s[10:11], s[8:9]
	s_ashr_i32 s5, s4, 31
	s_mul_u64 s[6:7], s[6:7], s[12:13]
	v_ashrrev_i32_e32 v7, 31, v6
	v_mad_nc_u64_u32 v[2:3], s6, v4, v[8:9]
	s_delay_alu instid0(VALU_DEP_2) | instskip(NEXT) | instid1(VALU_DEP_2)
	v_mov_b64_e32 v[8:9], v[6:7]
	v_mad_u32 v3, s7, v4, v3
	v_ashrrev_i32_e32 v4, 31, v4
	s_delay_alu instid0(VALU_DEP_1) | instskip(NEXT) | instid1(VALU_DEP_1)
	v_mad_u32 v3, s6, v4, v3
	v_mul_u64_e32 v[2:3], s[4:5], v[2:3]
.LBB4_21:
	s_wait_kmcnt 0x0
	v_lshl_add_u64 v[0:1], v[0:1], 3, s[2:3]
	s_delay_alu instid0(VALU_DEP_2)
	v_lshl_add_u64 v[2:3], v[2:3], 3, s[0:1]
	global_load_b64 v[0:1], v[0:1], off
	v_lshl_add_u64 v[2:3], v[8:9], 3, v[2:3]
	s_wait_xcnt 0x0
	s_wait_loadcnt 0x0
	global_atomic_add_f64 v[2:3], v[0:1], off scope:SCOPE_DEV
.LBB4_22:
	s_endpgm
	.section	.rodata,"a",@progbits
	.p2align	6, 0x0
	.amdhsa_kernel _ZN2at6native12_GLOBAL__N_149max_pool3d_with_indices_backward_single_out_frameIdEEvPT_PKS3_PKliiiiiiiiib
		.amdhsa_group_segment_fixed_size 0
		.amdhsa_private_segment_fixed_size 0
		.amdhsa_kernarg_size 320
		.amdhsa_user_sgpr_count 2
		.amdhsa_user_sgpr_dispatch_ptr 0
		.amdhsa_user_sgpr_queue_ptr 0
		.amdhsa_user_sgpr_kernarg_segment_ptr 1
		.amdhsa_user_sgpr_dispatch_id 0
		.amdhsa_user_sgpr_kernarg_preload_length 0
		.amdhsa_user_sgpr_kernarg_preload_offset 0
		.amdhsa_user_sgpr_private_segment_size 0
		.amdhsa_wavefront_size32 1
		.amdhsa_uses_dynamic_stack 0
		.amdhsa_enable_private_segment 0
		.amdhsa_system_sgpr_workgroup_id_x 1
		.amdhsa_system_sgpr_workgroup_id_y 1
		.amdhsa_system_sgpr_workgroup_id_z 1
		.amdhsa_system_sgpr_workgroup_info 0
		.amdhsa_system_vgpr_workitem_id 2
		.amdhsa_next_free_vgpr 16
		.amdhsa_next_free_sgpr 31
		.amdhsa_named_barrier_count 0
		.amdhsa_reserve_vcc 1
		.amdhsa_float_round_mode_32 0
		.amdhsa_float_round_mode_16_64 0
		.amdhsa_float_denorm_mode_32 3
		.amdhsa_float_denorm_mode_16_64 3
		.amdhsa_fp16_overflow 0
		.amdhsa_memory_ordered 1
		.amdhsa_forward_progress 1
		.amdhsa_inst_pref_size 16
		.amdhsa_round_robin_scheduling 0
		.amdhsa_exception_fp_ieee_invalid_op 0
		.amdhsa_exception_fp_denorm_src 0
		.amdhsa_exception_fp_ieee_div_zero 0
		.amdhsa_exception_fp_ieee_overflow 0
		.amdhsa_exception_fp_ieee_underflow 0
		.amdhsa_exception_fp_ieee_inexact 0
		.amdhsa_exception_int_div_zero 0
	.end_amdhsa_kernel
	.section	.text._ZN2at6native12_GLOBAL__N_149max_pool3d_with_indices_backward_single_out_frameIdEEvPT_PKS3_PKliiiiiiiiib,"axG",@progbits,_ZN2at6native12_GLOBAL__N_149max_pool3d_with_indices_backward_single_out_frameIdEEvPT_PKS3_PKliiiiiiiiib,comdat
.Lfunc_end4:
	.size	_ZN2at6native12_GLOBAL__N_149max_pool3d_with_indices_backward_single_out_frameIdEEvPT_PKS3_PKliiiiiiiiib, .Lfunc_end4-_ZN2at6native12_GLOBAL__N_149max_pool3d_with_indices_backward_single_out_frameIdEEvPT_PKS3_PKliiiiiiiiib
                                        ; -- End function
	.set _ZN2at6native12_GLOBAL__N_149max_pool3d_with_indices_backward_single_out_frameIdEEvPT_PKS3_PKliiiiiiiiib.num_vgpr, 16
	.set _ZN2at6native12_GLOBAL__N_149max_pool3d_with_indices_backward_single_out_frameIdEEvPT_PKS3_PKliiiiiiiiib.num_agpr, 0
	.set _ZN2at6native12_GLOBAL__N_149max_pool3d_with_indices_backward_single_out_frameIdEEvPT_PKS3_PKliiiiiiiiib.numbered_sgpr, 31
	.set _ZN2at6native12_GLOBAL__N_149max_pool3d_with_indices_backward_single_out_frameIdEEvPT_PKS3_PKliiiiiiiiib.num_named_barrier, 0
	.set _ZN2at6native12_GLOBAL__N_149max_pool3d_with_indices_backward_single_out_frameIdEEvPT_PKS3_PKliiiiiiiiib.private_seg_size, 0
	.set _ZN2at6native12_GLOBAL__N_149max_pool3d_with_indices_backward_single_out_frameIdEEvPT_PKS3_PKliiiiiiiiib.uses_vcc, 1
	.set _ZN2at6native12_GLOBAL__N_149max_pool3d_with_indices_backward_single_out_frameIdEEvPT_PKS3_PKliiiiiiiiib.uses_flat_scratch, 0
	.set _ZN2at6native12_GLOBAL__N_149max_pool3d_with_indices_backward_single_out_frameIdEEvPT_PKS3_PKliiiiiiiiib.has_dyn_sized_stack, 0
	.set _ZN2at6native12_GLOBAL__N_149max_pool3d_with_indices_backward_single_out_frameIdEEvPT_PKS3_PKliiiiiiiiib.has_recursion, 0
	.set _ZN2at6native12_GLOBAL__N_149max_pool3d_with_indices_backward_single_out_frameIdEEvPT_PKS3_PKliiiiiiiiib.has_indirect_call, 0
	.section	.AMDGPU.csdata,"",@progbits
; Kernel info:
; codeLenInByte = 1952
; TotalNumSgprs: 33
; NumVgprs: 16
; ScratchSize: 0
; MemoryBound: 0
; FloatMode: 240
; IeeeMode: 1
; LDSByteSize: 0 bytes/workgroup (compile time only)
; SGPRBlocks: 0
; VGPRBlocks: 0
; NumSGPRsForWavesPerEU: 33
; NumVGPRsForWavesPerEU: 16
; NamedBarCnt: 0
; Occupancy: 16
; WaveLimiterHint : 0
; COMPUTE_PGM_RSRC2:SCRATCH_EN: 0
; COMPUTE_PGM_RSRC2:USER_SGPR: 2
; COMPUTE_PGM_RSRC2:TRAP_HANDLER: 0
; COMPUTE_PGM_RSRC2:TGID_X_EN: 1
; COMPUTE_PGM_RSRC2:TGID_Y_EN: 1
; COMPUTE_PGM_RSRC2:TGID_Z_EN: 1
; COMPUTE_PGM_RSRC2:TIDIG_COMP_CNT: 2
	.section	.text._ZN2at6native12_GLOBAL__N_149max_pool3d_with_indices_backward_single_out_frameIfEEvPT_PKS3_PKliiiiiiiiib,"axG",@progbits,_ZN2at6native12_GLOBAL__N_149max_pool3d_with_indices_backward_single_out_frameIfEEvPT_PKS3_PKliiiiiiiiib,comdat
	.globl	_ZN2at6native12_GLOBAL__N_149max_pool3d_with_indices_backward_single_out_frameIfEEvPT_PKS3_PKliiiiiiiiib ; -- Begin function _ZN2at6native12_GLOBAL__N_149max_pool3d_with_indices_backward_single_out_frameIfEEvPT_PKS3_PKliiiiiiiiib
	.p2align	8
	.type	_ZN2at6native12_GLOBAL__N_149max_pool3d_with_indices_backward_single_out_frameIfEEvPT_PKS3_PKliiiiiiiiib,@function
_ZN2at6native12_GLOBAL__N_149max_pool3d_with_indices_backward_single_out_frameIfEEvPT_PKS3_PKliiiiiiiiib: ; @_ZN2at6native12_GLOBAL__N_149max_pool3d_with_indices_backward_single_out_frameIfEEvPT_PKS3_PKliiiiiiiiib
; %bb.0:
	s_clause 0x2
	s_load_b64 s[2:3], s[0:1], 0x38
	s_load_b64 s[14:15], s[0:1], 0x4c
	s_load_b256 s[4:11], s[0:1], 0x18
	s_getreg_b32 s20, hwreg(HW_REG_IB_STS2, 6, 4)
	v_bfe_u32 v1, v0, 20, 10
                                        ; implicit-def: $vgpr8_vgpr9
                                        ; implicit-def: $vgpr2_vgpr3
	s_wait_kmcnt 0x0
	s_bitcmp1_b32 s3, 0
	s_cselect_b32 s21, -1, 0
	s_bfe_u32 s3, ttmp6, 0x40014
	s_lshr_b32 s12, ttmp7, 16
	s_add_co_i32 s3, s3, 1
	s_bfe_u32 s13, ttmp6, 0x40008
	s_mul_i32 s3, s12, s3
	s_and_b32 s15, s15, 0xffff
	s_add_co_i32 s13, s13, s3
	s_cmp_eq_u32 s20, 0
	s_cselect_b32 s3, s12, s13
	s_mov_b32 s12, s9
	s_mul_i32 s3, s3, s15
	s_and_b32 vcc_lo, exec_lo, s21
	v_add3_u32 v1, s3, s2, v1
	s_mov_b32 s2, -1
	s_cbranch_vccnz .LBB5_2
; %bb.1:
	s_cvt_f32_u32 s2, s9
	s_sub_co_i32 s3, 0, s9
	v_mov_b32_e32 v9, 0
	s_delay_alu instid0(SALU_CYCLE_1) | instskip(SKIP_1) | instid1(TRANS32_DEP_1)
	v_rcp_iflag_f32_e32 v2, s2
	v_nop
	v_readfirstlane_b32 s2, v2
	s_mul_f32 s2, s2, 0x4f7ffffe
	s_delay_alu instid0(SALU_CYCLE_3) | instskip(NEXT) | instid1(SALU_CYCLE_3)
	s_cvt_u32_f32 s2, s2
	s_mul_i32 s3, s3, s2
	s_delay_alu instid0(SALU_CYCLE_1) | instskip(NEXT) | instid1(SALU_CYCLE_1)
	s_mul_hi_u32 s3, s2, s3
	s_add_co_i32 s2, s2, s3
	s_delay_alu instid0(SALU_CYCLE_1) | instskip(SKIP_1) | instid1(VALU_DEP_1)
	v_mul_hi_u32 v2, v1, s2
	s_mov_b32 s2, 0
	v_mul_lo_u32 v3, v2, s9
	s_delay_alu instid0(VALU_DEP_1) | instskip(NEXT) | instid1(VALU_DEP_1)
	v_dual_add_nc_u32 v4, 1, v2 :: v_dual_sub_nc_u32 v3, v1, v3
	v_subrev_nc_u32_e32 v5, s9, v3
	v_cmp_le_u32_e32 vcc_lo, s9, v3
	s_delay_alu instid0(VALU_DEP_2) | instskip(NEXT) | instid1(VALU_DEP_1)
	v_dual_cndmask_b32 v2, v2, v4 :: v_dual_cndmask_b32 v3, v3, v5
	v_add_nc_u32_e32 v4, 1, v2
	s_delay_alu instid0(VALU_DEP_2) | instskip(NEXT) | instid1(VALU_DEP_2)
	v_cmp_le_u32_e32 vcc_lo, s9, v3
	v_cndmask_b32_e32 v2, v2, v4, vcc_lo
	s_delay_alu instid0(VALU_DEP_1) | instskip(NEXT) | instid1(VALU_DEP_1)
	v_mul_lo_u32 v3, v2, s9
	v_sub_nc_u32_e32 v8, v1, v3
	v_mov_b32_e32 v3, v9
.LBB5_2:
	v_dual_mov_b32 v6, 0 :: v_dual_mov_b32 v4, 0
	s_and_not1_b32 vcc_lo, exec_lo, s2
	s_cbranch_vccnz .LBB5_7
; %bb.3:
	s_cvt_f32_u32 s2, s4
	s_sub_co_i32 s3, 0, s4
	s_ashr_i32 s13, s9, 31
	s_delay_alu instid0(SALU_CYCLE_1) | instskip(SKIP_1) | instid1(TRANS32_DEP_1)
	v_rcp_iflag_f32_e32 v2, s2
	v_nop
	v_readfirstlane_b32 s2, v2
	s_mul_f32 s2, s2, 0x4f7ffffe
	s_delay_alu instid0(SALU_CYCLE_3) | instskip(NEXT) | instid1(SALU_CYCLE_3)
	s_cvt_u32_f32 s2, s2
	s_mul_i32 s3, s3, s2
	s_delay_alu instid0(SALU_CYCLE_1) | instskip(NEXT) | instid1(SALU_CYCLE_1)
	s_mul_hi_u32 s3, s2, s3
	s_add_co_i32 s2, s2, s3
	s_delay_alu instid0(SALU_CYCLE_1) | instskip(SKIP_1) | instid1(SALU_CYCLE_1)
	v_mul_hi_u32 v2, v1, s2
	s_and_b64 s[2:3], s[12:13], 0xffffffff00000000
	s_cmp_lg_u64 s[2:3], 0
	s_mov_b32 s3, 0
	s_delay_alu instid0(VALU_DEP_1) | instskip(NEXT) | instid1(VALU_DEP_1)
	v_mul_lo_u32 v3, v2, s4
	v_dual_add_nc_u32 v4, 1, v2 :: v_dual_sub_nc_u32 v3, v1, v3
	s_delay_alu instid0(VALU_DEP_1) | instskip(SKIP_1) | instid1(VALU_DEP_2)
	v_subrev_nc_u32_e32 v5, s4, v3
	v_cmp_le_u32_e32 vcc_lo, s4, v3
	v_dual_cndmask_b32 v2, v2, v4, vcc_lo :: v_dual_cndmask_b32 v4, v3, v5, vcc_lo
	s_delay_alu instid0(VALU_DEP_1) | instskip(NEXT) | instid1(VALU_DEP_2)
	v_dual_mov_b32 v3, 0 :: v_dual_add_nc_u32 v5, 1, v2
	v_cmp_le_u32_e32 vcc_lo, s4, v4
	s_delay_alu instid0(VALU_DEP_2)
	v_cndmask_b32_e32 v2, v2, v5, vcc_lo
	s_cbranch_scc0 .LBB5_12
; %bb.4:
	s_ashr_i32 s16, s13, 31
	s_delay_alu instid0(VALU_DEP_1)
	v_add_nc_u64_e32 v[4:5], 0, v[2:3]
	s_mov_b32 s17, s16
	v_mov_b32_e32 v7, v3
	s_add_nc_u64 s[18:19], s[12:13], s[16:17]
	v_mov_b32_e32 v9, v3
	s_xor_b64 s[18:19], s[18:19], s[16:17]
	v_mov_b32_e32 v13, v3
	s_cvt_f32_u32 s2, s18
	s_cvt_f32_u32 s15, s19
	s_sub_nc_u64 s[24:25], 0, s[18:19]
	v_dual_mov_b32 v6, v4 :: v_dual_mov_b32 v8, v5
	s_delay_alu instid0(SALU_CYCLE_1) | instskip(NEXT) | instid1(SALU_CYCLE_3)
	s_fmamk_f32 s2, s15, 0x4f800000, s2
	v_s_rcp_f32 s2, s2
	s_delay_alu instid0(TRANS32_DEP_1) | instskip(NEXT) | instid1(SALU_CYCLE_3)
	s_mul_f32 s2, s2, 0x5f7ffffc
	s_mul_f32 s15, s2, 0x2f800000
	s_delay_alu instid0(SALU_CYCLE_3) | instskip(NEXT) | instid1(SALU_CYCLE_3)
	s_trunc_f32 s15, s15
	s_fmamk_f32 s2, s15, 0xcf800000, s2
	s_cvt_u32_f32 s23, s15
	s_delay_alu instid0(SALU_CYCLE_2) | instskip(NEXT) | instid1(SALU_CYCLE_3)
	s_cvt_u32_f32 s22, s2
	s_mul_u64 s[26:27], s[24:25], s[22:23]
	s_delay_alu instid0(SALU_CYCLE_1)
	s_mul_hi_u32 s29, s22, s27
	s_mul_i32 s28, s22, s27
	s_mul_hi_u32 s2, s22, s26
	s_mul_i32 s17, s23, s26
	s_add_nc_u64 s[28:29], s[2:3], s[28:29]
	s_mul_hi_u32 s15, s23, s26
	s_mul_hi_u32 s30, s23, s27
	s_add_co_u32 s2, s28, s17
	s_add_co_ci_u32 s2, s29, s15
	s_mul_i32 s26, s23, s27
	s_add_co_ci_u32 s27, s30, 0
	s_delay_alu instid0(SALU_CYCLE_1) | instskip(NEXT) | instid1(SALU_CYCLE_1)
	s_add_nc_u64 s[26:27], s[2:3], s[26:27]
	s_add_co_u32 s22, s22, s26
	s_cselect_b32 s2, -1, 0
	s_delay_alu instid0(SALU_CYCLE_1) | instskip(SKIP_1) | instid1(SALU_CYCLE_1)
	s_cmp_lg_u32 s2, 0
	s_add_co_ci_u32 s23, s23, s27
	s_mul_u64 s[24:25], s[24:25], s[22:23]
	s_delay_alu instid0(SALU_CYCLE_1)
	s_mul_hi_u32 s27, s22, s25
	s_mul_i32 s26, s22, s25
	s_mul_hi_u32 s2, s22, s24
	s_mul_i32 s17, s23, s24
	s_add_nc_u64 s[26:27], s[2:3], s[26:27]
	s_mul_hi_u32 s15, s23, s24
	s_mul_hi_u32 s28, s23, s25
	s_add_co_u32 s2, s26, s17
	s_add_co_ci_u32 s2, s27, s15
	s_mul_i32 s24, s23, s25
	s_add_co_ci_u32 s25, s28, 0
	s_delay_alu instid0(SALU_CYCLE_1) | instskip(NEXT) | instid1(SALU_CYCLE_1)
	s_add_nc_u64 s[24:25], s[2:3], s[24:25]
	s_add_co_u32 s22, s22, s24
	s_cselect_b32 s2, -1, 0
	v_mul_hi_u32 v12, v4, s22
	s_cmp_lg_u32 s2, 0
	s_add_co_ci_u32 s2, s23, s25
	s_mov_b64 s[24:25], 0xffffffff
	v_mul_u64_e32 v[6:7], s[2:3], v[6:7]
	s_and_b64 s[24:25], s[22:23], s[24:25]
	s_delay_alu instid0(SALU_CYCLE_1) | instskip(SKIP_1) | instid1(VALU_DEP_3)
	v_mul_u64_e32 v[10:11], s[24:25], v[8:9]
	v_mul_u64_e32 v[8:9], s[2:3], v[8:9]
	v_add_nc_u64_e32 v[6:7], v[12:13], v[6:7]
	s_delay_alu instid0(VALU_DEP_1) | instskip(NEXT) | instid1(VALU_DEP_2)
	v_add_co_u32 v6, vcc_lo, v6, v10
	v_add_co_ci_u32_e32 v12, vcc_lo, v7, v11, vcc_lo
	s_delay_alu instid0(VALU_DEP_4) | instskip(NEXT) | instid1(VALU_DEP_1)
	v_add_co_ci_u32_e32 v9, vcc_lo, 0, v9, vcc_lo
	v_add_nc_u64_e32 v[6:7], v[12:13], v[8:9]
	s_delay_alu instid0(VALU_DEP_1) | instskip(NEXT) | instid1(VALU_DEP_1)
	v_mul_u64_e32 v[8:9], s[18:19], v[6:7]
	v_sub_nc_u32_e32 v10, v5, v9
	s_delay_alu instid0(VALU_DEP_2) | instskip(NEXT) | instid1(VALU_DEP_1)
	v_sub_co_u32 v4, vcc_lo, v4, v8
	v_sub_co_ci_u32_e64 v9, null, v5, v9, vcc_lo
	s_delay_alu instid0(VALU_DEP_3) | instskip(NEXT) | instid1(VALU_DEP_3)
	v_subrev_co_ci_u32_e64 v8, null, s19, v10, vcc_lo
	v_sub_co_u32 v12, s2, v4, s18
	v_cmp_le_u32_e32 vcc_lo, s18, v4
	s_delay_alu instid0(VALU_DEP_3) | instskip(NEXT) | instid1(VALU_DEP_3)
	v_subrev_co_ci_u32_e64 v8, null, 0, v8, s2
	v_cmp_le_u32_e64 s2, s18, v12
	v_add_nc_u64_e32 v[10:11], 2, v[6:7]
	v_cndmask_b32_e64 v14, 0, -1, vcc_lo
	s_delay_alu instid0(VALU_DEP_4) | instskip(SKIP_3) | instid1(VALU_DEP_1)
	v_cmp_eq_u32_e32 vcc_lo, s19, v8
	v_add_nc_u64_e32 v[4:5], 1, v[6:7]
	v_cndmask_b32_e64 v12, 0, -1, s2
	v_cmp_le_u32_e64 s2, s19, v8
	v_cndmask_b32_e64 v13, 0, -1, s2
	v_cmp_eq_u32_e64 s2, s19, v9
	s_delay_alu instid0(VALU_DEP_2) | instskip(SKIP_2) | instid1(VALU_DEP_3)
	v_cndmask_b32_e32 v8, v13, v12, vcc_lo
	v_cmp_le_u32_e32 vcc_lo, s19, v9
	v_cndmask_b32_e64 v12, 0, -1, vcc_lo
	v_cmp_ne_u32_e32 vcc_lo, 0, v8
	s_delay_alu instid0(VALU_DEP_2) | instskip(SKIP_1) | instid1(VALU_DEP_2)
	v_dual_cndmask_b32 v8, v12, v14, s2 :: v_dual_cndmask_b32 v5, v5, v11, vcc_lo
	v_cndmask_b32_e32 v4, v4, v10, vcc_lo
	v_cmp_ne_u32_e32 vcc_lo, 0, v8
	s_delay_alu instid0(VALU_DEP_2) | instskip(SKIP_1) | instid1(VALU_DEP_2)
	v_dual_cndmask_b32 v7, v7, v5 :: v_dual_cndmask_b32 v6, v6, v4
	v_dual_mov_b32 v5, s16 :: v_dual_mov_b32 v4, s16
	v_xor_b32_e32 v7, s16, v7
	s_delay_alu instid0(VALU_DEP_3) | instskip(NEXT) | instid1(VALU_DEP_1)
	v_xor_b32_e32 v6, s16, v6
	v_sub_nc_u64_e32 v[4:5], v[6:7], v[4:5]
	s_and_not1_b32 vcc_lo, exec_lo, s3
	s_cbranch_vccnz .LBB5_6
.LBB5_5:
	v_cvt_f32_u32_e32 v4, s12
	s_sub_co_i32 s2, 0, s12
	s_delay_alu instid0(VALU_DEP_1) | instskip(SKIP_1) | instid1(TRANS32_DEP_1)
	v_rcp_iflag_f32_e32 v4, v4
	v_nop
	v_mul_f32_e32 v4, 0x4f7ffffe, v4
	s_delay_alu instid0(VALU_DEP_1) | instskip(NEXT) | instid1(VALU_DEP_1)
	v_cvt_u32_f32_e32 v4, v4
	v_mul_lo_u32 v5, s2, v4
	s_delay_alu instid0(VALU_DEP_1) | instskip(NEXT) | instid1(VALU_DEP_1)
	v_mul_hi_u32 v5, v4, v5
	v_add_nc_u32_e32 v4, v4, v5
	s_delay_alu instid0(VALU_DEP_1) | instskip(NEXT) | instid1(VALU_DEP_1)
	v_mul_hi_u32 v4, v2, v4
	v_mul_lo_u32 v5, v4, s12
	s_delay_alu instid0(VALU_DEP_1) | instskip(NEXT) | instid1(VALU_DEP_1)
	v_dual_add_nc_u32 v6, 1, v4 :: v_dual_sub_nc_u32 v5, v2, v5
	v_subrev_nc_u32_e32 v7, s12, v5
	v_cmp_le_u32_e32 vcc_lo, s12, v5
	s_delay_alu instid0(VALU_DEP_2) | instskip(NEXT) | instid1(VALU_DEP_1)
	v_dual_cndmask_b32 v5, v5, v7 :: v_dual_cndmask_b32 v4, v4, v6
	v_cmp_le_u32_e32 vcc_lo, s12, v5
	s_delay_alu instid0(VALU_DEP_2) | instskip(NEXT) | instid1(VALU_DEP_1)
	v_dual_mov_b32 v5, 0 :: v_dual_add_nc_u32 v6, 1, v4
	v_cndmask_b32_e32 v4, v4, v6, vcc_lo
.LBB5_6:
	s_delay_alu instid0(VALU_DEP_1) | instskip(SKIP_1) | instid1(VALU_DEP_2)
	v_mul_u64_e32 v[6:7], s[12:13], v[4:5]
	v_mul_lo_u32 v5, v2, s4
	v_sub_nc_u64_e32 v[8:9], v[2:3], v[6:7]
	s_delay_alu instid0(VALU_DEP_2)
	v_sub_nc_u32_e32 v6, v1, v5
.LBB5_7:
	s_bfe_u32 s2, ttmp6, 0x40010
	s_and_b32 s3, ttmp7, 0xffff
	s_add_co_i32 s2, s2, 1
	s_bfe_u32 s13, ttmp6, 0x40004
	s_mul_i32 s2, s3, s2
	s_xor_b32 s18, s21, -1
	s_lshr_b32 s15, s14, 16
	s_add_co_i32 s13, s13, s2
	v_bfe_u32 v1, v0, 10, 10
	s_cmp_eq_u32 s20, 0
	v_mov_b32_e32 v11, 0
	s_cselect_b32 s2, s3, s13
	s_ashr_i32 s17, s10, 31
	v_mad_u32 v10, s2, s15, v1
	s_mov_b32 s16, s10
	s_mov_b32 s2, exec_lo
	s_delay_alu instid0(VALU_DEP_1)
	v_cmpx_gt_i64_e64 s[16:17], v[10:11]
	s_cbranch_execz .LBB5_22
; %bb.8:
	s_bfe_u32 s2, ttmp6, 0x4000c
	s_and_b32 s3, ttmp6, 15
	s_add_co_i32 s2, s2, 1
	s_and_b32 s10, s14, 0xffff
	s_mul_i32 s2, ttmp9, s2
	v_and_b32_e32 v0, 0x3ff, v0
	s_add_co_i32 s3, s3, s2
	s_cmp_eq_u32 s20, 0
	v_mov_b32_e32 v13, v11
	s_cselect_b32 s2, ttmp9, s3
	s_ashr_i32 s15, s11, 31
	v_mad_u32 v12, s2, s10, v0
	s_mov_b32 s14, s11
	s_delay_alu instid0(VALU_DEP_1) | instid1(SALU_CYCLE_1)
	v_cmp_gt_i64_e32 vcc_lo, s[14:15], v[12:13]
	s_and_b32 exec_lo, exec_lo, vcc_lo
	s_cbranch_execz .LBB5_22
; %bb.9:
	s_ashr_i32 s13, s9, 31
	v_cmp_gt_i32_e64 s2, s8, v4
	v_cmp_gt_i64_e32 vcc_lo, s[12:13], v[8:9]
	v_cmp_gt_i32_e64 s3, s4, v6
	s_and_b32 s2, vcc_lo, s2
	s_delay_alu instid0(SALU_CYCLE_1) | instskip(NEXT) | instid1(SALU_CYCLE_1)
	s_and_b32 s2, s3, s2
	s_and_b32 exec_lo, exec_lo, s2
	s_cbranch_execz .LBB5_22
; %bb.10:
	v_cndmask_b32_e64 v5, 0, 1, s18
	s_and_not1_b32 vcc_lo, exec_lo, s18
	s_cbranch_vccnz .LBB5_13
; %bb.11:
	v_mad_nc_u64_u32 v[0:1], v2, s12, v[8:9]
	s_delay_alu instid0(VALU_DEP_1) | instskip(NEXT) | instid1(VALU_DEP_2)
	v_mad_u32 v1, v3, s12, v1
	v_mad_nc_u64_u32 v[14:15], v0, s16, v[10:11]
	s_delay_alu instid0(VALU_DEP_2) | instskip(NEXT) | instid1(VALU_DEP_1)
	v_mad_u32 v1, v2, s13, v1
	v_mad_u32 v1, v1, s16, v15
	s_delay_alu instid0(VALU_DEP_1) | instskip(NEXT) | instid1(VALU_DEP_4)
	v_mad_u32 v7, v0, s17, v1
	v_mad_nc_u64_u32 v[0:1], v14, s14, v[12:13]
	s_delay_alu instid0(VALU_DEP_1) | instskip(NEXT) | instid1(VALU_DEP_1)
	v_mad_u32 v1, v7, s14, v1
	v_mad_u32 v1, v14, s15, v1
	s_cbranch_execz .LBB5_14
	s_branch .LBB5_15
.LBB5_12:
                                        ; implicit-def: $vgpr4_vgpr5
	s_branch .LBB5_5
.LBB5_13:
                                        ; implicit-def: $vgpr0_vgpr1
.LBB5_14:
	v_mad_nc_i64_i32 v[0:1], v4, s12, v[8:9]
	v_ashrrev_i32_e32 v7, 31, v6
	s_ashr_i32 s2, s4, 31
	s_delay_alu instid0(VALU_DEP_2) | instskip(NEXT) | instid1(VALU_DEP_1)
	v_mad_nc_u64_u32 v[8:9], v0, s16, v[10:11]
	v_mad_u32 v1, v1, s16, v9
	s_delay_alu instid0(VALU_DEP_2) | instskip(NEXT) | instid1(VALU_DEP_2)
	v_mad_nc_u64_u32 v[10:11], v8, s14, v[12:13]
	v_mad_u32 v0, v0, s17, v1
	s_delay_alu instid0(VALU_DEP_1) | instskip(NEXT) | instid1(VALU_DEP_1)
	v_mad_u32 v0, v0, s14, v11
	v_mad_u32 v8, v8, s15, v0
	s_delay_alu instid0(VALU_DEP_4) | instskip(NEXT) | instid1(VALU_DEP_1)
	v_mad_nc_u64_u32 v[0:1], v10, s4, v[6:7]
	v_mad_u32 v1, v8, s4, v1
	s_delay_alu instid0(VALU_DEP_1)
	v_mad_u32 v1, v10, s2, v1
.LBB5_15:
	s_load_b64 s[2:3], s[0:1], 0x10
	s_wait_kmcnt 0x0
	s_delay_alu instid0(VALU_DEP_1)
	v_lshl_add_u64 v[8:9], v[0:1], 3, s[2:3]
	global_load_b64 v[8:9], v[8:9], off
	s_wait_loadcnt 0x0
	v_cmp_ne_u64_e32 vcc_lo, -1, v[8:9]
	s_and_b32 exec_lo, exec_lo, vcc_lo
	s_cbranch_execz .LBB5_22
; %bb.16:
	s_load_b128 s[0:3], s[0:1], 0x0
	v_cmp_ne_u32_e32 vcc_lo, 1, v5
	s_cbranch_vccnz .LBB5_18
; %bb.17:
	s_ashr_i32 s9, s5, 31
	s_mov_b32 s8, s5
	s_ashr_i32 s11, s6, 31
	s_mov_b32 s10, s6
	;; [unrolled: 2-line block ×3, first 2 shown]
	s_mul_u64 s[8:9], s[10:11], s[8:9]
	s_delay_alu instid0(SALU_CYCLE_1) | instskip(NEXT) | instid1(SALU_CYCLE_1)
	s_mul_u64 s[8:9], s[8:9], s[12:13]
	v_mul_u64_e32 v[2:3], s[8:9], v[2:3]
	s_mov_b32 s8, 0
	s_branch .LBB5_19
.LBB5_18:
	s_mov_b32 s8, -1
                                        ; implicit-def: $vgpr2_vgpr3
.LBB5_19:
	s_delay_alu instid0(SALU_CYCLE_1)
	s_and_not1_b32 vcc_lo, exec_lo, s8
	s_cbranch_vccnz .LBB5_21
; %bb.20:
	s_ashr_i32 s9, s5, 31
	s_mov_b32 s8, s5
	s_ashr_i32 s11, s6, 31
	s_mov_b32 s10, s6
	;; [unrolled: 2-line block ×3, first 2 shown]
	s_mul_u64 s[6:7], s[10:11], s[8:9]
	s_ashr_i32 s5, s4, 31
	s_mul_u64 s[6:7], s[6:7], s[12:13]
	v_ashrrev_i32_e32 v7, 31, v6
	v_mad_nc_u64_u32 v[2:3], s6, v4, v[8:9]
	s_delay_alu instid0(VALU_DEP_2) | instskip(NEXT) | instid1(VALU_DEP_2)
	v_mov_b64_e32 v[8:9], v[6:7]
	v_mad_u32 v3, s7, v4, v3
	v_ashrrev_i32_e32 v4, 31, v4
	s_delay_alu instid0(VALU_DEP_1) | instskip(NEXT) | instid1(VALU_DEP_1)
	v_mad_u32 v3, s6, v4, v3
	v_mul_u64_e32 v[2:3], s[4:5], v[2:3]
.LBB5_21:
	s_wait_kmcnt 0x0
	v_lshl_add_u64 v[0:1], v[0:1], 2, s[2:3]
	global_load_b32 v4, v[0:1], off
	s_wait_xcnt 0x0
	v_lshl_add_u64 v[0:1], v[2:3], 2, s[0:1]
	s_delay_alu instid0(VALU_DEP_1)
	v_lshl_add_u64 v[0:1], v[8:9], 2, v[0:1]
	s_wait_loadcnt 0x0
	global_atomic_add_f32 v[0:1], v4, off scope:SCOPE_DEV
.LBB5_22:
	s_endpgm
	.section	.rodata,"a",@progbits
	.p2align	6, 0x0
	.amdhsa_kernel _ZN2at6native12_GLOBAL__N_149max_pool3d_with_indices_backward_single_out_frameIfEEvPT_PKS3_PKliiiiiiiiib
		.amdhsa_group_segment_fixed_size 0
		.amdhsa_private_segment_fixed_size 0
		.amdhsa_kernarg_size 320
		.amdhsa_user_sgpr_count 2
		.amdhsa_user_sgpr_dispatch_ptr 0
		.amdhsa_user_sgpr_queue_ptr 0
		.amdhsa_user_sgpr_kernarg_segment_ptr 1
		.amdhsa_user_sgpr_dispatch_id 0
		.amdhsa_user_sgpr_kernarg_preload_length 0
		.amdhsa_user_sgpr_kernarg_preload_offset 0
		.amdhsa_user_sgpr_private_segment_size 0
		.amdhsa_wavefront_size32 1
		.amdhsa_uses_dynamic_stack 0
		.amdhsa_enable_private_segment 0
		.amdhsa_system_sgpr_workgroup_id_x 1
		.amdhsa_system_sgpr_workgroup_id_y 1
		.amdhsa_system_sgpr_workgroup_id_z 1
		.amdhsa_system_sgpr_workgroup_info 0
		.amdhsa_system_vgpr_workitem_id 2
		.amdhsa_next_free_vgpr 16
		.amdhsa_next_free_sgpr 31
		.amdhsa_named_barrier_count 0
		.amdhsa_reserve_vcc 1
		.amdhsa_float_round_mode_32 0
		.amdhsa_float_round_mode_16_64 0
		.amdhsa_float_denorm_mode_32 3
		.amdhsa_float_denorm_mode_16_64 3
		.amdhsa_fp16_overflow 0
		.amdhsa_memory_ordered 1
		.amdhsa_forward_progress 1
		.amdhsa_inst_pref_size 16
		.amdhsa_round_robin_scheduling 0
		.amdhsa_exception_fp_ieee_invalid_op 0
		.amdhsa_exception_fp_denorm_src 0
		.amdhsa_exception_fp_ieee_div_zero 0
		.amdhsa_exception_fp_ieee_overflow 0
		.amdhsa_exception_fp_ieee_underflow 0
		.amdhsa_exception_fp_ieee_inexact 0
		.amdhsa_exception_int_div_zero 0
	.end_amdhsa_kernel
	.section	.text._ZN2at6native12_GLOBAL__N_149max_pool3d_with_indices_backward_single_out_frameIfEEvPT_PKS3_PKliiiiiiiiib,"axG",@progbits,_ZN2at6native12_GLOBAL__N_149max_pool3d_with_indices_backward_single_out_frameIfEEvPT_PKS3_PKliiiiiiiiib,comdat
.Lfunc_end5:
	.size	_ZN2at6native12_GLOBAL__N_149max_pool3d_with_indices_backward_single_out_frameIfEEvPT_PKS3_PKliiiiiiiiib, .Lfunc_end5-_ZN2at6native12_GLOBAL__N_149max_pool3d_with_indices_backward_single_out_frameIfEEvPT_PKS3_PKliiiiiiiiib
                                        ; -- End function
	.set _ZN2at6native12_GLOBAL__N_149max_pool3d_with_indices_backward_single_out_frameIfEEvPT_PKS3_PKliiiiiiiiib.num_vgpr, 16
	.set _ZN2at6native12_GLOBAL__N_149max_pool3d_with_indices_backward_single_out_frameIfEEvPT_PKS3_PKliiiiiiiiib.num_agpr, 0
	.set _ZN2at6native12_GLOBAL__N_149max_pool3d_with_indices_backward_single_out_frameIfEEvPT_PKS3_PKliiiiiiiiib.numbered_sgpr, 31
	.set _ZN2at6native12_GLOBAL__N_149max_pool3d_with_indices_backward_single_out_frameIfEEvPT_PKS3_PKliiiiiiiiib.num_named_barrier, 0
	.set _ZN2at6native12_GLOBAL__N_149max_pool3d_with_indices_backward_single_out_frameIfEEvPT_PKS3_PKliiiiiiiiib.private_seg_size, 0
	.set _ZN2at6native12_GLOBAL__N_149max_pool3d_with_indices_backward_single_out_frameIfEEvPT_PKS3_PKliiiiiiiiib.uses_vcc, 1
	.set _ZN2at6native12_GLOBAL__N_149max_pool3d_with_indices_backward_single_out_frameIfEEvPT_PKS3_PKliiiiiiiiib.uses_flat_scratch, 0
	.set _ZN2at6native12_GLOBAL__N_149max_pool3d_with_indices_backward_single_out_frameIfEEvPT_PKS3_PKliiiiiiiiib.has_dyn_sized_stack, 0
	.set _ZN2at6native12_GLOBAL__N_149max_pool3d_with_indices_backward_single_out_frameIfEEvPT_PKS3_PKliiiiiiiiib.has_recursion, 0
	.set _ZN2at6native12_GLOBAL__N_149max_pool3d_with_indices_backward_single_out_frameIfEEvPT_PKS3_PKliiiiiiiiib.has_indirect_call, 0
	.section	.AMDGPU.csdata,"",@progbits
; Kernel info:
; codeLenInByte = 1952
; TotalNumSgprs: 33
; NumVgprs: 16
; ScratchSize: 0
; MemoryBound: 0
; FloatMode: 240
; IeeeMode: 1
; LDSByteSize: 0 bytes/workgroup (compile time only)
; SGPRBlocks: 0
; VGPRBlocks: 0
; NumSGPRsForWavesPerEU: 33
; NumVGPRsForWavesPerEU: 16
; NamedBarCnt: 0
; Occupancy: 16
; WaveLimiterHint : 0
; COMPUTE_PGM_RSRC2:SCRATCH_EN: 0
; COMPUTE_PGM_RSRC2:USER_SGPR: 2
; COMPUTE_PGM_RSRC2:TRAP_HANDLER: 0
; COMPUTE_PGM_RSRC2:TGID_X_EN: 1
; COMPUTE_PGM_RSRC2:TGID_Y_EN: 1
; COMPUTE_PGM_RSRC2:TGID_Z_EN: 1
; COMPUTE_PGM_RSRC2:TIDIG_COMP_CNT: 2
	.section	.text._ZN2at6native12_GLOBAL__N_149max_pool3d_with_indices_backward_single_out_frameIN3c104HalfEEEvPT_PKS5_PKliiiiiiiiib,"axG",@progbits,_ZN2at6native12_GLOBAL__N_149max_pool3d_with_indices_backward_single_out_frameIN3c104HalfEEEvPT_PKS5_PKliiiiiiiiib,comdat
	.globl	_ZN2at6native12_GLOBAL__N_149max_pool3d_with_indices_backward_single_out_frameIN3c104HalfEEEvPT_PKS5_PKliiiiiiiiib ; -- Begin function _ZN2at6native12_GLOBAL__N_149max_pool3d_with_indices_backward_single_out_frameIN3c104HalfEEEvPT_PKS5_PKliiiiiiiiib
	.p2align	8
	.type	_ZN2at6native12_GLOBAL__N_149max_pool3d_with_indices_backward_single_out_frameIN3c104HalfEEEvPT_PKS5_PKliiiiiiiiib,@function
_ZN2at6native12_GLOBAL__N_149max_pool3d_with_indices_backward_single_out_frameIN3c104HalfEEEvPT_PKS5_PKliiiiiiiiib: ; @_ZN2at6native12_GLOBAL__N_149max_pool3d_with_indices_backward_single_out_frameIN3c104HalfEEEvPT_PKS5_PKliiiiiiiiib
; %bb.0:
	s_clause 0x2
	s_load_b64 s[2:3], s[0:1], 0x38
	s_load_b64 s[14:15], s[0:1], 0x4c
	s_load_b256 s[4:11], s[0:1], 0x18
	s_getreg_b32 s20, hwreg(HW_REG_IB_STS2, 6, 4)
	v_bfe_u32 v1, v0, 20, 10
                                        ; implicit-def: $vgpr8_vgpr9
                                        ; implicit-def: $vgpr2_vgpr3
	s_wait_kmcnt 0x0
	s_bitcmp1_b32 s3, 0
	s_cselect_b32 s21, -1, 0
	s_bfe_u32 s3, ttmp6, 0x40014
	s_lshr_b32 s12, ttmp7, 16
	s_add_co_i32 s3, s3, 1
	s_bfe_u32 s13, ttmp6, 0x40008
	s_mul_i32 s3, s12, s3
	s_and_b32 s15, s15, 0xffff
	s_add_co_i32 s13, s13, s3
	s_cmp_eq_u32 s20, 0
	s_cselect_b32 s3, s12, s13
	s_mov_b32 s12, s9
	s_mul_i32 s3, s3, s15
	s_and_b32 vcc_lo, exec_lo, s21
	v_add3_u32 v1, s3, s2, v1
	s_mov_b32 s2, -1
	s_cbranch_vccnz .LBB6_2
; %bb.1:
	s_cvt_f32_u32 s2, s9
	s_sub_co_i32 s3, 0, s9
	v_mov_b32_e32 v9, 0
	s_delay_alu instid0(SALU_CYCLE_1) | instskip(SKIP_1) | instid1(TRANS32_DEP_1)
	v_rcp_iflag_f32_e32 v2, s2
	v_nop
	v_readfirstlane_b32 s2, v2
	s_mul_f32 s2, s2, 0x4f7ffffe
	s_delay_alu instid0(SALU_CYCLE_3) | instskip(NEXT) | instid1(SALU_CYCLE_3)
	s_cvt_u32_f32 s2, s2
	s_mul_i32 s3, s3, s2
	s_delay_alu instid0(SALU_CYCLE_1) | instskip(NEXT) | instid1(SALU_CYCLE_1)
	s_mul_hi_u32 s3, s2, s3
	s_add_co_i32 s2, s2, s3
	s_delay_alu instid0(SALU_CYCLE_1) | instskip(SKIP_1) | instid1(VALU_DEP_1)
	v_mul_hi_u32 v2, v1, s2
	s_mov_b32 s2, 0
	v_mul_lo_u32 v3, v2, s9
	s_delay_alu instid0(VALU_DEP_1) | instskip(NEXT) | instid1(VALU_DEP_1)
	v_dual_add_nc_u32 v4, 1, v2 :: v_dual_sub_nc_u32 v3, v1, v3
	v_subrev_nc_u32_e32 v5, s9, v3
	v_cmp_le_u32_e32 vcc_lo, s9, v3
	s_delay_alu instid0(VALU_DEP_2) | instskip(NEXT) | instid1(VALU_DEP_1)
	v_dual_cndmask_b32 v2, v2, v4 :: v_dual_cndmask_b32 v3, v3, v5
	v_add_nc_u32_e32 v4, 1, v2
	s_delay_alu instid0(VALU_DEP_2) | instskip(NEXT) | instid1(VALU_DEP_2)
	v_cmp_le_u32_e32 vcc_lo, s9, v3
	v_cndmask_b32_e32 v2, v2, v4, vcc_lo
	s_delay_alu instid0(VALU_DEP_1) | instskip(NEXT) | instid1(VALU_DEP_1)
	v_mul_lo_u32 v3, v2, s9
	v_sub_nc_u32_e32 v8, v1, v3
	v_mov_b32_e32 v3, v9
.LBB6_2:
	v_dual_mov_b32 v4, 0 :: v_dual_mov_b32 v6, 0
	s_and_not1_b32 vcc_lo, exec_lo, s2
	s_cbranch_vccnz .LBB6_7
; %bb.3:
	s_cvt_f32_u32 s2, s4
	s_sub_co_i32 s3, 0, s4
	s_ashr_i32 s13, s9, 31
	s_delay_alu instid0(SALU_CYCLE_1) | instskip(SKIP_1) | instid1(TRANS32_DEP_1)
	v_rcp_iflag_f32_e32 v2, s2
	v_nop
	v_readfirstlane_b32 s2, v2
	s_mul_f32 s2, s2, 0x4f7ffffe
	s_delay_alu instid0(SALU_CYCLE_3) | instskip(NEXT) | instid1(SALU_CYCLE_3)
	s_cvt_u32_f32 s2, s2
	s_mul_i32 s3, s3, s2
	s_delay_alu instid0(SALU_CYCLE_1) | instskip(NEXT) | instid1(SALU_CYCLE_1)
	s_mul_hi_u32 s3, s2, s3
	s_add_co_i32 s2, s2, s3
	s_delay_alu instid0(SALU_CYCLE_1) | instskip(SKIP_1) | instid1(SALU_CYCLE_1)
	v_mul_hi_u32 v2, v1, s2
	s_and_b64 s[2:3], s[12:13], 0xffffffff00000000
	s_cmp_lg_u64 s[2:3], 0
	s_mov_b32 s3, 0
	s_delay_alu instid0(VALU_DEP_1) | instskip(NEXT) | instid1(VALU_DEP_1)
	v_mul_lo_u32 v3, v2, s4
	v_dual_add_nc_u32 v4, 1, v2 :: v_dual_sub_nc_u32 v3, v1, v3
	s_delay_alu instid0(VALU_DEP_1) | instskip(SKIP_1) | instid1(VALU_DEP_2)
	v_subrev_nc_u32_e32 v5, s4, v3
	v_cmp_le_u32_e32 vcc_lo, s4, v3
	v_dual_cndmask_b32 v2, v2, v4, vcc_lo :: v_dual_cndmask_b32 v4, v3, v5, vcc_lo
	s_delay_alu instid0(VALU_DEP_1) | instskip(NEXT) | instid1(VALU_DEP_2)
	v_dual_mov_b32 v3, 0 :: v_dual_add_nc_u32 v5, 1, v2
	v_cmp_le_u32_e32 vcc_lo, s4, v4
	s_delay_alu instid0(VALU_DEP_2)
	v_cndmask_b32_e32 v2, v2, v5, vcc_lo
	s_cbranch_scc0 .LBB6_12
; %bb.4:
	s_ashr_i32 s16, s13, 31
	s_delay_alu instid0(VALU_DEP_1)
	v_add_nc_u64_e32 v[4:5], 0, v[2:3]
	s_mov_b32 s17, s16
	v_mov_b32_e32 v7, v3
	s_add_nc_u64 s[18:19], s[12:13], s[16:17]
	v_mov_b32_e32 v9, v3
	s_xor_b64 s[18:19], s[18:19], s[16:17]
	v_mov_b32_e32 v13, v3
	s_cvt_f32_u32 s2, s18
	s_cvt_f32_u32 s15, s19
	s_sub_nc_u64 s[24:25], 0, s[18:19]
	v_dual_mov_b32 v6, v4 :: v_dual_mov_b32 v8, v5
	s_delay_alu instid0(SALU_CYCLE_1) | instskip(NEXT) | instid1(SALU_CYCLE_3)
	s_fmamk_f32 s2, s15, 0x4f800000, s2
	v_s_rcp_f32 s2, s2
	s_delay_alu instid0(TRANS32_DEP_1) | instskip(NEXT) | instid1(SALU_CYCLE_3)
	s_mul_f32 s2, s2, 0x5f7ffffc
	s_mul_f32 s15, s2, 0x2f800000
	s_delay_alu instid0(SALU_CYCLE_3) | instskip(NEXT) | instid1(SALU_CYCLE_3)
	s_trunc_f32 s15, s15
	s_fmamk_f32 s2, s15, 0xcf800000, s2
	s_cvt_u32_f32 s23, s15
	s_delay_alu instid0(SALU_CYCLE_2) | instskip(NEXT) | instid1(SALU_CYCLE_3)
	s_cvt_u32_f32 s22, s2
	s_mul_u64 s[26:27], s[24:25], s[22:23]
	s_delay_alu instid0(SALU_CYCLE_1)
	s_mul_hi_u32 s29, s22, s27
	s_mul_i32 s28, s22, s27
	s_mul_hi_u32 s2, s22, s26
	s_mul_i32 s17, s23, s26
	s_add_nc_u64 s[28:29], s[2:3], s[28:29]
	s_mul_hi_u32 s15, s23, s26
	s_mul_hi_u32 s30, s23, s27
	s_add_co_u32 s2, s28, s17
	s_add_co_ci_u32 s2, s29, s15
	s_mul_i32 s26, s23, s27
	s_add_co_ci_u32 s27, s30, 0
	s_delay_alu instid0(SALU_CYCLE_1) | instskip(NEXT) | instid1(SALU_CYCLE_1)
	s_add_nc_u64 s[26:27], s[2:3], s[26:27]
	s_add_co_u32 s22, s22, s26
	s_cselect_b32 s2, -1, 0
	s_delay_alu instid0(SALU_CYCLE_1) | instskip(SKIP_1) | instid1(SALU_CYCLE_1)
	s_cmp_lg_u32 s2, 0
	s_add_co_ci_u32 s23, s23, s27
	s_mul_u64 s[24:25], s[24:25], s[22:23]
	s_delay_alu instid0(SALU_CYCLE_1)
	s_mul_hi_u32 s27, s22, s25
	s_mul_i32 s26, s22, s25
	s_mul_hi_u32 s2, s22, s24
	s_mul_i32 s17, s23, s24
	s_add_nc_u64 s[26:27], s[2:3], s[26:27]
	s_mul_hi_u32 s15, s23, s24
	s_mul_hi_u32 s28, s23, s25
	s_add_co_u32 s2, s26, s17
	s_add_co_ci_u32 s2, s27, s15
	s_mul_i32 s24, s23, s25
	s_add_co_ci_u32 s25, s28, 0
	s_delay_alu instid0(SALU_CYCLE_1) | instskip(NEXT) | instid1(SALU_CYCLE_1)
	s_add_nc_u64 s[24:25], s[2:3], s[24:25]
	s_add_co_u32 s22, s22, s24
	s_cselect_b32 s2, -1, 0
	v_mul_hi_u32 v12, v4, s22
	s_cmp_lg_u32 s2, 0
	s_add_co_ci_u32 s2, s23, s25
	s_mov_b64 s[24:25], 0xffffffff
	v_mul_u64_e32 v[6:7], s[2:3], v[6:7]
	s_and_b64 s[24:25], s[22:23], s[24:25]
	s_delay_alu instid0(SALU_CYCLE_1) | instskip(SKIP_1) | instid1(VALU_DEP_3)
	v_mul_u64_e32 v[10:11], s[24:25], v[8:9]
	v_mul_u64_e32 v[8:9], s[2:3], v[8:9]
	v_add_nc_u64_e32 v[6:7], v[12:13], v[6:7]
	s_delay_alu instid0(VALU_DEP_1) | instskip(NEXT) | instid1(VALU_DEP_2)
	v_add_co_u32 v6, vcc_lo, v6, v10
	v_add_co_ci_u32_e32 v12, vcc_lo, v7, v11, vcc_lo
	s_delay_alu instid0(VALU_DEP_4) | instskip(NEXT) | instid1(VALU_DEP_1)
	v_add_co_ci_u32_e32 v9, vcc_lo, 0, v9, vcc_lo
	v_add_nc_u64_e32 v[6:7], v[12:13], v[8:9]
	s_delay_alu instid0(VALU_DEP_1) | instskip(NEXT) | instid1(VALU_DEP_1)
	v_mul_u64_e32 v[8:9], s[18:19], v[6:7]
	v_sub_nc_u32_e32 v10, v5, v9
	s_delay_alu instid0(VALU_DEP_2) | instskip(NEXT) | instid1(VALU_DEP_1)
	v_sub_co_u32 v4, vcc_lo, v4, v8
	v_sub_co_ci_u32_e64 v9, null, v5, v9, vcc_lo
	s_delay_alu instid0(VALU_DEP_3) | instskip(NEXT) | instid1(VALU_DEP_3)
	v_subrev_co_ci_u32_e64 v8, null, s19, v10, vcc_lo
	v_sub_co_u32 v12, s2, v4, s18
	v_cmp_le_u32_e32 vcc_lo, s18, v4
	s_delay_alu instid0(VALU_DEP_3) | instskip(NEXT) | instid1(VALU_DEP_3)
	v_subrev_co_ci_u32_e64 v8, null, 0, v8, s2
	v_cmp_le_u32_e64 s2, s18, v12
	v_add_nc_u64_e32 v[10:11], 2, v[6:7]
	v_cndmask_b32_e64 v14, 0, -1, vcc_lo
	s_delay_alu instid0(VALU_DEP_4) | instskip(SKIP_3) | instid1(VALU_DEP_1)
	v_cmp_eq_u32_e32 vcc_lo, s19, v8
	v_add_nc_u64_e32 v[4:5], 1, v[6:7]
	v_cndmask_b32_e64 v12, 0, -1, s2
	v_cmp_le_u32_e64 s2, s19, v8
	v_cndmask_b32_e64 v13, 0, -1, s2
	v_cmp_eq_u32_e64 s2, s19, v9
	s_delay_alu instid0(VALU_DEP_2) | instskip(SKIP_2) | instid1(VALU_DEP_3)
	v_cndmask_b32_e32 v8, v13, v12, vcc_lo
	v_cmp_le_u32_e32 vcc_lo, s19, v9
	v_cndmask_b32_e64 v12, 0, -1, vcc_lo
	v_cmp_ne_u32_e32 vcc_lo, 0, v8
	s_delay_alu instid0(VALU_DEP_2) | instskip(SKIP_1) | instid1(VALU_DEP_2)
	v_dual_cndmask_b32 v8, v12, v14, s2 :: v_dual_cndmask_b32 v5, v5, v11, vcc_lo
	v_cndmask_b32_e32 v4, v4, v10, vcc_lo
	v_cmp_ne_u32_e32 vcc_lo, 0, v8
	s_delay_alu instid0(VALU_DEP_2) | instskip(SKIP_1) | instid1(VALU_DEP_2)
	v_dual_cndmask_b32 v7, v7, v5 :: v_dual_cndmask_b32 v6, v6, v4
	v_dual_mov_b32 v5, s16 :: v_dual_mov_b32 v4, s16
	v_xor_b32_e32 v7, s16, v7
	s_delay_alu instid0(VALU_DEP_3) | instskip(NEXT) | instid1(VALU_DEP_1)
	v_xor_b32_e32 v6, s16, v6
	v_sub_nc_u64_e32 v[4:5], v[6:7], v[4:5]
	s_and_not1_b32 vcc_lo, exec_lo, s3
	s_cbranch_vccnz .LBB6_6
.LBB6_5:
	v_cvt_f32_u32_e32 v4, s12
	s_sub_co_i32 s2, 0, s12
	s_delay_alu instid0(VALU_DEP_1) | instskip(SKIP_1) | instid1(TRANS32_DEP_1)
	v_rcp_iflag_f32_e32 v4, v4
	v_nop
	v_mul_f32_e32 v4, 0x4f7ffffe, v4
	s_delay_alu instid0(VALU_DEP_1) | instskip(NEXT) | instid1(VALU_DEP_1)
	v_cvt_u32_f32_e32 v4, v4
	v_mul_lo_u32 v5, s2, v4
	s_delay_alu instid0(VALU_DEP_1) | instskip(NEXT) | instid1(VALU_DEP_1)
	v_mul_hi_u32 v5, v4, v5
	v_add_nc_u32_e32 v4, v4, v5
	s_delay_alu instid0(VALU_DEP_1) | instskip(NEXT) | instid1(VALU_DEP_1)
	v_mul_hi_u32 v4, v2, v4
	v_mul_lo_u32 v5, v4, s12
	s_delay_alu instid0(VALU_DEP_1) | instskip(NEXT) | instid1(VALU_DEP_1)
	v_dual_add_nc_u32 v6, 1, v4 :: v_dual_sub_nc_u32 v5, v2, v5
	v_subrev_nc_u32_e32 v7, s12, v5
	v_cmp_le_u32_e32 vcc_lo, s12, v5
	s_delay_alu instid0(VALU_DEP_2) | instskip(NEXT) | instid1(VALU_DEP_1)
	v_dual_cndmask_b32 v5, v5, v7 :: v_dual_cndmask_b32 v4, v4, v6
	v_cmp_le_u32_e32 vcc_lo, s12, v5
	s_delay_alu instid0(VALU_DEP_2) | instskip(NEXT) | instid1(VALU_DEP_1)
	v_dual_mov_b32 v5, 0 :: v_dual_add_nc_u32 v6, 1, v4
	v_cndmask_b32_e32 v4, v4, v6, vcc_lo
.LBB6_6:
	s_delay_alu instid0(VALU_DEP_1) | instskip(SKIP_1) | instid1(VALU_DEP_2)
	v_mul_u64_e32 v[6:7], s[12:13], v[4:5]
	v_mul_lo_u32 v5, v2, s4
	v_sub_nc_u64_e32 v[8:9], v[2:3], v[6:7]
	s_delay_alu instid0(VALU_DEP_2)
	v_sub_nc_u32_e32 v6, v1, v5
.LBB6_7:
	s_bfe_u32 s2, ttmp6, 0x40010
	s_and_b32 s3, ttmp7, 0xffff
	s_add_co_i32 s2, s2, 1
	s_bfe_u32 s13, ttmp6, 0x40004
	s_mul_i32 s2, s3, s2
	s_xor_b32 s18, s21, -1
	s_lshr_b32 s15, s14, 16
	s_add_co_i32 s13, s13, s2
	v_bfe_u32 v1, v0, 10, 10
	s_cmp_eq_u32 s20, 0
	v_mov_b32_e32 v11, 0
	s_cselect_b32 s2, s3, s13
	s_ashr_i32 s17, s10, 31
	v_mad_u32 v10, s2, s15, v1
	s_mov_b32 s16, s10
	s_mov_b32 s2, exec_lo
	s_delay_alu instid0(VALU_DEP_1)
	v_cmpx_gt_i64_e64 s[16:17], v[10:11]
	s_cbranch_execz .LBB6_31
; %bb.8:
	s_bfe_u32 s2, ttmp6, 0x4000c
	s_and_b32 s3, ttmp6, 15
	s_add_co_i32 s2, s2, 1
	s_and_b32 s10, s14, 0xffff
	s_mul_i32 s2, ttmp9, s2
	v_and_b32_e32 v0, 0x3ff, v0
	s_add_co_i32 s3, s3, s2
	s_cmp_eq_u32 s20, 0
	v_mov_b32_e32 v1, v11
	s_cselect_b32 s2, ttmp9, s3
	s_ashr_i32 s15, s11, 31
	v_mad_u32 v0, s2, s10, v0
	s_mov_b32 s14, s11
	s_delay_alu instid0(VALU_DEP_1) | instid1(SALU_CYCLE_1)
	v_cmp_gt_i64_e32 vcc_lo, s[14:15], v[0:1]
	s_and_b32 exec_lo, exec_lo, vcc_lo
	s_cbranch_execz .LBB6_31
; %bb.9:
	s_ashr_i32 s13, s9, 31
	v_cmp_gt_i32_e64 s2, s8, v4
	v_cmp_gt_i64_e32 vcc_lo, s[12:13], v[8:9]
	v_cmp_gt_i32_e64 s3, s4, v6
	s_and_b32 s2, vcc_lo, s2
	s_delay_alu instid0(SALU_CYCLE_1) | instskip(NEXT) | instid1(SALU_CYCLE_1)
	s_and_b32 s2, s3, s2
	s_and_b32 exec_lo, exec_lo, s2
	s_cbranch_execz .LBB6_31
; %bb.10:
	v_cndmask_b32_e64 v5, 0, 1, s18
	s_and_not1_b32 vcc_lo, exec_lo, s18
	s_cbranch_vccnz .LBB6_13
; %bb.11:
	v_mad_nc_u64_u32 v[12:13], v2, s12, v[8:9]
	s_delay_alu instid0(VALU_DEP_1) | instskip(NEXT) | instid1(VALU_DEP_2)
	v_mad_u32 v7, v3, s12, v13
	v_mad_nc_u64_u32 v[14:15], v12, s16, v[10:11]
	s_delay_alu instid0(VALU_DEP_2) | instskip(NEXT) | instid1(VALU_DEP_1)
	v_mad_u32 v7, v2, s13, v7
	v_mad_u32 v7, v7, s16, v15
	s_delay_alu instid0(VALU_DEP_1) | instskip(NEXT) | instid1(VALU_DEP_4)
	v_mad_u32 v7, v12, s17, v7
	v_mad_nc_u64_u32 v[12:13], v14, s14, v[0:1]
	s_delay_alu instid0(VALU_DEP_1) | instskip(NEXT) | instid1(VALU_DEP_1)
	v_mad_u32 v7, v7, s14, v13
	v_mad_u32 v13, v14, s15, v7
	s_cbranch_execz .LBB6_14
	s_branch .LBB6_15
.LBB6_12:
                                        ; implicit-def: $vgpr4_vgpr5
	s_branch .LBB6_5
.LBB6_13:
                                        ; implicit-def: $vgpr12_vgpr13
.LBB6_14:
	v_mad_nc_i64_i32 v[8:9], v4, s12, v[8:9]
	s_ashr_i32 s2, s4, 31
	s_delay_alu instid0(VALU_DEP_1) | instskip(NEXT) | instid1(VALU_DEP_1)
	v_mad_nc_u64_u32 v[10:11], v8, s16, v[10:11]
	v_mad_u32 v7, v9, s16, v11
	s_delay_alu instid0(VALU_DEP_2) | instskip(NEXT) | instid1(VALU_DEP_2)
	v_mad_nc_u64_u32 v[0:1], v10, s14, v[0:1]
	v_mad_u32 v7, v8, s17, v7
	s_delay_alu instid0(VALU_DEP_1) | instskip(SKIP_1) | instid1(VALU_DEP_1)
	v_mad_u32 v1, v7, s14, v1
	v_ashrrev_i32_e32 v7, 31, v6
	v_mad_nc_u64_u32 v[12:13], v0, s4, v[6:7]
	s_delay_alu instid0(VALU_DEP_3) | instskip(NEXT) | instid1(VALU_DEP_1)
	v_mad_u32 v1, v10, s15, v1
	v_mad_u32 v1, v1, s4, v13
	s_delay_alu instid0(VALU_DEP_1)
	v_mad_u32 v13, v0, s2, v1
.LBB6_15:
	s_load_b64 s[2:3], s[0:1], 0x10
	s_wait_kmcnt 0x0
	s_delay_alu instid0(VALU_DEP_1)
	v_lshl_add_u64 v[0:1], v[12:13], 3, s[2:3]
	global_load_b64 v[8:9], v[0:1], off
	s_wait_loadcnt 0x0
	v_cmp_ne_u64_e32 vcc_lo, -1, v[8:9]
	s_and_b32 exec_lo, exec_lo, vcc_lo
	s_cbranch_execz .LBB6_31
; %bb.16:
	s_load_b128 s[8:11], s[0:1], 0x0
	v_cmp_ne_u32_e32 vcc_lo, 1, v5
	s_wait_xcnt 0x0
	s_mov_b32 s0, -1
	s_wait_kmcnt 0x0
	v_lshl_add_u64 v[0:1], v[12:13], 1, s[10:11]
	s_cbranch_vccnz .LBB6_24
; %bb.17:
	s_ashr_i32 s1, s5, 31
	s_mov_b32 s0, s5
	s_ashr_i32 s3, s6, 31
	s_mov_b32 s2, s6
	;; [unrolled: 2-line block ×3, first 2 shown]
	s_mul_u64 s[0:1], s[2:3], s[0:1]
	s_mov_b32 s2, 0
	s_mul_u64 s[0:1], s[0:1], s[10:11]
	v_mov_b32_e32 v13, 0
	v_mul_u64_e32 v[2:3], s[0:1], v[2:3]
	s_delay_alu instid0(VALU_DEP_1) | instskip(NEXT) | instid1(VALU_DEP_1)
	v_lshl_add_u64 v[2:3], v[2:3], 1, s[8:9]
	v_lshl_add_u64 v[2:3], v[8:9], 1, v[2:3]
	s_delay_alu instid0(VALU_DEP_1) | instskip(NEXT) | instid1(VALU_DEP_1)
	v_and_b32_e32 v12, 2, v2
	v_sub_nc_u64_e32 v[10:11], 0, v[12:13]
	v_cmp_ne_u32_e64 s0, 0, v12
	v_cmp_eq_u64_e32 vcc_lo, 0, v[12:13]
	s_delay_alu instid0(VALU_DEP_3)
	v_add_nc_u64_e32 v[2:3], v[2:3], v[10:11]
	global_load_u16 v5, v[0:1], off
	global_load_b32 v11, v[2:3], off
	s_branch .LBB6_19
.LBB6_18:                               ;   in Loop: Header=BB6_19 Depth=1
	s_or_b32 exec_lo, exec_lo, s1
	global_atomic_cmpswap_b32 v7, v[2:3], v[10:11], off th:TH_ATOMIC_RETURN scope:SCOPE_DEV
	s_wait_loadcnt 0x0
	v_cmp_eq_u32_e64 s1, v11, v7
	v_mov_b32_e32 v11, v7
	s_or_b32 s2, s1, s2
	s_delay_alu instid0(SALU_CYCLE_1)
	s_and_not1_b32 exec_lo, exec_lo, s2
	s_cbranch_execz .LBB6_23
.LBB6_19:                               ; =>This Inner Loop Header: Depth=1
	s_wait_loadcnt 0x0
	v_lshrrev_b32_e32 v7, 16, v11
	s_delay_alu instid0(VALU_DEP_1) | instskip(NEXT) | instid1(VALU_DEP_1)
	v_cndmask_b32_e32 v7, v7, v11, vcc_lo
	v_add_f16_e32 v7, v5, v7
	s_delay_alu instid0(VALU_DEP_1) | instskip(SKIP_1) | instid1(SALU_CYCLE_1)
	v_and_b32_e32 v7, 0xffff, v7
	s_and_saveexec_b32 s1, s0
	s_xor_b32 s1, exec_lo, s1
; %bb.20:                               ;   in Loop: Header=BB6_19 Depth=1
	v_and_b32_e32 v10, 0xffff, v11
	s_delay_alu instid0(VALU_DEP_1)
	v_lshl_or_b32 v10, v7, 16, v10
                                        ; implicit-def: $vgpr7
; %bb.21:                               ;   in Loop: Header=BB6_19 Depth=1
	s_and_not1_saveexec_b32 s1, s1
	s_cbranch_execz .LBB6_18
; %bb.22:                               ;   in Loop: Header=BB6_19 Depth=1
	v_and_or_b32 v10, 0xffff0000, v11, v7
	s_branch .LBB6_18
.LBB6_23:
	s_or_b32 exec_lo, exec_lo, s2
	s_mov_b32 s0, 0
.LBB6_24:
	s_delay_alu instid0(SALU_CYCLE_1)
	s_and_b32 vcc_lo, exec_lo, s0
	s_cbranch_vccz .LBB6_31
; %bb.25:
	s_ashr_i32 s1, s5, 31
	s_mov_b32 s0, s5
	s_ashr_i32 s3, s6, 31
	s_mov_b32 s2, s6
	;; [unrolled: 2-line block ×3, first 2 shown]
	s_mul_u64 s[0:1], s[2:3], s[0:1]
	s_ashr_i32 s5, s4, 31
	s_mul_u64 s[0:1], s[0:1], s[10:11]
	s_mov_b32 s2, 0
	v_mad_nc_u64_u32 v[2:3], s0, v4, v[8:9]
	v_dual_ashrrev_i32 v7, 31, v6 :: v_dual_mov_b32 v9, 0
	s_delay_alu instid0(VALU_DEP_2) | instskip(SKIP_1) | instid1(VALU_DEP_1)
	v_mad_u32 v3, s1, v4, v3
	v_ashrrev_i32_e32 v4, 31, v4
	v_mad_u32 v3, s0, v4, v3
	s_delay_alu instid0(VALU_DEP_1) | instskip(NEXT) | instid1(VALU_DEP_1)
	v_mul_u64_e32 v[2:3], s[4:5], v[2:3]
	v_lshl_add_u64 v[2:3], v[2:3], 1, s[8:9]
	s_delay_alu instid0(VALU_DEP_1) | instskip(NEXT) | instid1(VALU_DEP_1)
	v_lshl_add_u64 v[2:3], v[6:7], 1, v[2:3]
	v_and_b32_e32 v8, 2, v2
	s_delay_alu instid0(VALU_DEP_1) | instskip(SKIP_2) | instid1(VALU_DEP_3)
	v_sub_nc_u64_e32 v[4:5], 0, v[8:9]
	v_cmp_ne_u32_e64 s0, 0, v8
	v_cmp_eq_u64_e32 vcc_lo, 0, v[8:9]
	v_add_nc_u64_e32 v[2:3], v[2:3], v[4:5]
	global_load_u16 v6, v[0:1], off
	global_load_b32 v5, v[2:3], off
	s_branch .LBB6_27
.LBB6_26:                               ;   in Loop: Header=BB6_27 Depth=1
	s_or_b32 exec_lo, exec_lo, s1
	global_atomic_cmpswap_b32 v0, v[2:3], v[4:5], off th:TH_ATOMIC_RETURN scope:SCOPE_DEV
	s_wait_loadcnt 0x0
	v_cmp_eq_u32_e64 s1, v5, v0
	v_mov_b32_e32 v5, v0
	s_or_b32 s2, s1, s2
	s_delay_alu instid0(SALU_CYCLE_1)
	s_and_not1_b32 exec_lo, exec_lo, s2
	s_cbranch_execz .LBB6_31
.LBB6_27:                               ; =>This Inner Loop Header: Depth=1
	s_wait_loadcnt 0x0
	v_lshrrev_b32_e32 v0, 16, v5
	s_delay_alu instid0(VALU_DEP_1) | instskip(NEXT) | instid1(VALU_DEP_1)
	v_cndmask_b32_e32 v0, v0, v5, vcc_lo
	v_add_f16_e32 v0, v6, v0
	s_delay_alu instid0(VALU_DEP_1) | instskip(SKIP_1) | instid1(SALU_CYCLE_1)
	v_and_b32_e32 v0, 0xffff, v0
	s_and_saveexec_b32 s1, s0
	s_xor_b32 s1, exec_lo, s1
; %bb.28:                               ;   in Loop: Header=BB6_27 Depth=1
	v_and_b32_e32 v1, 0xffff, v5
	s_delay_alu instid0(VALU_DEP_1)
	v_lshl_or_b32 v4, v0, 16, v1
                                        ; implicit-def: $vgpr0
; %bb.29:                               ;   in Loop: Header=BB6_27 Depth=1
	s_and_not1_saveexec_b32 s1, s1
	s_cbranch_execz .LBB6_26
; %bb.30:                               ;   in Loop: Header=BB6_27 Depth=1
	v_and_or_b32 v4, 0xffff0000, v5, v0
	s_branch .LBB6_26
.LBB6_31:
	s_endpgm
	.section	.rodata,"a",@progbits
	.p2align	6, 0x0
	.amdhsa_kernel _ZN2at6native12_GLOBAL__N_149max_pool3d_with_indices_backward_single_out_frameIN3c104HalfEEEvPT_PKS5_PKliiiiiiiiib
		.amdhsa_group_segment_fixed_size 0
		.amdhsa_private_segment_fixed_size 0
		.amdhsa_kernarg_size 320
		.amdhsa_user_sgpr_count 2
		.amdhsa_user_sgpr_dispatch_ptr 0
		.amdhsa_user_sgpr_queue_ptr 0
		.amdhsa_user_sgpr_kernarg_segment_ptr 1
		.amdhsa_user_sgpr_dispatch_id 0
		.amdhsa_user_sgpr_kernarg_preload_length 0
		.amdhsa_user_sgpr_kernarg_preload_offset 0
		.amdhsa_user_sgpr_private_segment_size 0
		.amdhsa_wavefront_size32 1
		.amdhsa_uses_dynamic_stack 0
		.amdhsa_enable_private_segment 0
		.amdhsa_system_sgpr_workgroup_id_x 1
		.amdhsa_system_sgpr_workgroup_id_y 1
		.amdhsa_system_sgpr_workgroup_id_z 1
		.amdhsa_system_sgpr_workgroup_info 0
		.amdhsa_system_vgpr_workitem_id 2
		.amdhsa_next_free_vgpr 16
		.amdhsa_next_free_sgpr 31
		.amdhsa_named_barrier_count 0
		.amdhsa_reserve_vcc 1
		.amdhsa_float_round_mode_32 0
		.amdhsa_float_round_mode_16_64 0
		.amdhsa_float_denorm_mode_32 3
		.amdhsa_float_denorm_mode_16_64 3
		.amdhsa_fp16_overflow 0
		.amdhsa_memory_ordered 1
		.amdhsa_forward_progress 1
		.amdhsa_inst_pref_size 19
		.amdhsa_round_robin_scheduling 0
		.amdhsa_exception_fp_ieee_invalid_op 0
		.amdhsa_exception_fp_denorm_src 0
		.amdhsa_exception_fp_ieee_div_zero 0
		.amdhsa_exception_fp_ieee_overflow 0
		.amdhsa_exception_fp_ieee_underflow 0
		.amdhsa_exception_fp_ieee_inexact 0
		.amdhsa_exception_int_div_zero 0
	.end_amdhsa_kernel
	.section	.text._ZN2at6native12_GLOBAL__N_149max_pool3d_with_indices_backward_single_out_frameIN3c104HalfEEEvPT_PKS5_PKliiiiiiiiib,"axG",@progbits,_ZN2at6native12_GLOBAL__N_149max_pool3d_with_indices_backward_single_out_frameIN3c104HalfEEEvPT_PKS5_PKliiiiiiiiib,comdat
.Lfunc_end6:
	.size	_ZN2at6native12_GLOBAL__N_149max_pool3d_with_indices_backward_single_out_frameIN3c104HalfEEEvPT_PKS5_PKliiiiiiiiib, .Lfunc_end6-_ZN2at6native12_GLOBAL__N_149max_pool3d_with_indices_backward_single_out_frameIN3c104HalfEEEvPT_PKS5_PKliiiiiiiiib
                                        ; -- End function
	.set _ZN2at6native12_GLOBAL__N_149max_pool3d_with_indices_backward_single_out_frameIN3c104HalfEEEvPT_PKS5_PKliiiiiiiiib.num_vgpr, 16
	.set _ZN2at6native12_GLOBAL__N_149max_pool3d_with_indices_backward_single_out_frameIN3c104HalfEEEvPT_PKS5_PKliiiiiiiiib.num_agpr, 0
	.set _ZN2at6native12_GLOBAL__N_149max_pool3d_with_indices_backward_single_out_frameIN3c104HalfEEEvPT_PKS5_PKliiiiiiiiib.numbered_sgpr, 31
	.set _ZN2at6native12_GLOBAL__N_149max_pool3d_with_indices_backward_single_out_frameIN3c104HalfEEEvPT_PKS5_PKliiiiiiiiib.num_named_barrier, 0
	.set _ZN2at6native12_GLOBAL__N_149max_pool3d_with_indices_backward_single_out_frameIN3c104HalfEEEvPT_PKS5_PKliiiiiiiiib.private_seg_size, 0
	.set _ZN2at6native12_GLOBAL__N_149max_pool3d_with_indices_backward_single_out_frameIN3c104HalfEEEvPT_PKS5_PKliiiiiiiiib.uses_vcc, 1
	.set _ZN2at6native12_GLOBAL__N_149max_pool3d_with_indices_backward_single_out_frameIN3c104HalfEEEvPT_PKS5_PKliiiiiiiiib.uses_flat_scratch, 0
	.set _ZN2at6native12_GLOBAL__N_149max_pool3d_with_indices_backward_single_out_frameIN3c104HalfEEEvPT_PKS5_PKliiiiiiiiib.has_dyn_sized_stack, 0
	.set _ZN2at6native12_GLOBAL__N_149max_pool3d_with_indices_backward_single_out_frameIN3c104HalfEEEvPT_PKS5_PKliiiiiiiiib.has_recursion, 0
	.set _ZN2at6native12_GLOBAL__N_149max_pool3d_with_indices_backward_single_out_frameIN3c104HalfEEEvPT_PKS5_PKliiiiiiiiib.has_indirect_call, 0
	.section	.AMDGPU.csdata,"",@progbits
; Kernel info:
; codeLenInByte = 2336
; TotalNumSgprs: 33
; NumVgprs: 16
; ScratchSize: 0
; MemoryBound: 0
; FloatMode: 240
; IeeeMode: 1
; LDSByteSize: 0 bytes/workgroup (compile time only)
; SGPRBlocks: 0
; VGPRBlocks: 0
; NumSGPRsForWavesPerEU: 33
; NumVGPRsForWavesPerEU: 16
; NamedBarCnt: 0
; Occupancy: 16
; WaveLimiterHint : 1
; COMPUTE_PGM_RSRC2:SCRATCH_EN: 0
; COMPUTE_PGM_RSRC2:USER_SGPR: 2
; COMPUTE_PGM_RSRC2:TRAP_HANDLER: 0
; COMPUTE_PGM_RSRC2:TGID_X_EN: 1
; COMPUTE_PGM_RSRC2:TGID_Y_EN: 1
; COMPUTE_PGM_RSRC2:TGID_Z_EN: 1
; COMPUTE_PGM_RSRC2:TIDIG_COMP_CNT: 2
	.section	.text._ZN2at6native12_GLOBAL__N_149max_pool3d_with_indices_backward_single_out_frameIN3c108BFloat16EEEvPT_PKS5_PKliiiiiiiiib,"axG",@progbits,_ZN2at6native12_GLOBAL__N_149max_pool3d_with_indices_backward_single_out_frameIN3c108BFloat16EEEvPT_PKS5_PKliiiiiiiiib,comdat
	.globl	_ZN2at6native12_GLOBAL__N_149max_pool3d_with_indices_backward_single_out_frameIN3c108BFloat16EEEvPT_PKS5_PKliiiiiiiiib ; -- Begin function _ZN2at6native12_GLOBAL__N_149max_pool3d_with_indices_backward_single_out_frameIN3c108BFloat16EEEvPT_PKS5_PKliiiiiiiiib
	.p2align	8
	.type	_ZN2at6native12_GLOBAL__N_149max_pool3d_with_indices_backward_single_out_frameIN3c108BFloat16EEEvPT_PKS5_PKliiiiiiiiib,@function
_ZN2at6native12_GLOBAL__N_149max_pool3d_with_indices_backward_single_out_frameIN3c108BFloat16EEEvPT_PKS5_PKliiiiiiiiib: ; @_ZN2at6native12_GLOBAL__N_149max_pool3d_with_indices_backward_single_out_frameIN3c108BFloat16EEEvPT_PKS5_PKliiiiiiiiib
; %bb.0:
	s_clause 0x2
	s_load_b64 s[2:3], s[0:1], 0x38
	s_load_b64 s[14:15], s[0:1], 0x4c
	s_load_b256 s[4:11], s[0:1], 0x18
	s_getreg_b32 s20, hwreg(HW_REG_IB_STS2, 6, 4)
	v_bfe_u32 v1, v0, 20, 10
                                        ; implicit-def: $vgpr8_vgpr9
                                        ; implicit-def: $vgpr2_vgpr3
	s_wait_kmcnt 0x0
	s_bitcmp1_b32 s3, 0
	s_cselect_b32 s21, -1, 0
	s_bfe_u32 s3, ttmp6, 0x40014
	s_lshr_b32 s12, ttmp7, 16
	s_add_co_i32 s3, s3, 1
	s_bfe_u32 s13, ttmp6, 0x40008
	s_mul_i32 s3, s12, s3
	s_and_b32 s15, s15, 0xffff
	s_add_co_i32 s13, s13, s3
	s_cmp_eq_u32 s20, 0
	s_cselect_b32 s3, s12, s13
	s_mov_b32 s12, s9
	s_mul_i32 s3, s3, s15
	s_and_b32 vcc_lo, exec_lo, s21
	v_add3_u32 v1, s3, s2, v1
	s_mov_b32 s2, -1
	s_cbranch_vccnz .LBB7_2
; %bb.1:
	s_cvt_f32_u32 s2, s9
	s_sub_co_i32 s3, 0, s9
	v_mov_b32_e32 v9, 0
	s_delay_alu instid0(SALU_CYCLE_1) | instskip(SKIP_1) | instid1(TRANS32_DEP_1)
	v_rcp_iflag_f32_e32 v2, s2
	v_nop
	v_readfirstlane_b32 s2, v2
	s_mul_f32 s2, s2, 0x4f7ffffe
	s_delay_alu instid0(SALU_CYCLE_3) | instskip(NEXT) | instid1(SALU_CYCLE_3)
	s_cvt_u32_f32 s2, s2
	s_mul_i32 s3, s3, s2
	s_delay_alu instid0(SALU_CYCLE_1) | instskip(NEXT) | instid1(SALU_CYCLE_1)
	s_mul_hi_u32 s3, s2, s3
	s_add_co_i32 s2, s2, s3
	s_delay_alu instid0(SALU_CYCLE_1) | instskip(SKIP_1) | instid1(VALU_DEP_1)
	v_mul_hi_u32 v2, v1, s2
	s_mov_b32 s2, 0
	v_mul_lo_u32 v3, v2, s9
	s_delay_alu instid0(VALU_DEP_1) | instskip(NEXT) | instid1(VALU_DEP_1)
	v_dual_add_nc_u32 v4, 1, v2 :: v_dual_sub_nc_u32 v3, v1, v3
	v_subrev_nc_u32_e32 v5, s9, v3
	v_cmp_le_u32_e32 vcc_lo, s9, v3
	s_delay_alu instid0(VALU_DEP_2) | instskip(NEXT) | instid1(VALU_DEP_1)
	v_dual_cndmask_b32 v2, v2, v4 :: v_dual_cndmask_b32 v3, v3, v5
	v_add_nc_u32_e32 v4, 1, v2
	s_delay_alu instid0(VALU_DEP_2) | instskip(NEXT) | instid1(VALU_DEP_2)
	v_cmp_le_u32_e32 vcc_lo, s9, v3
	v_cndmask_b32_e32 v2, v2, v4, vcc_lo
	s_delay_alu instid0(VALU_DEP_1) | instskip(NEXT) | instid1(VALU_DEP_1)
	v_mul_lo_u32 v3, v2, s9
	v_sub_nc_u32_e32 v8, v1, v3
	v_mov_b32_e32 v3, v9
.LBB7_2:
	v_dual_mov_b32 v4, 0 :: v_dual_mov_b32 v6, 0
	s_and_not1_b32 vcc_lo, exec_lo, s2
	s_cbranch_vccnz .LBB7_7
; %bb.3:
	s_cvt_f32_u32 s2, s4
	s_sub_co_i32 s3, 0, s4
	s_ashr_i32 s13, s9, 31
	s_delay_alu instid0(SALU_CYCLE_1) | instskip(SKIP_1) | instid1(TRANS32_DEP_1)
	v_rcp_iflag_f32_e32 v2, s2
	v_nop
	v_readfirstlane_b32 s2, v2
	s_mul_f32 s2, s2, 0x4f7ffffe
	s_delay_alu instid0(SALU_CYCLE_3) | instskip(NEXT) | instid1(SALU_CYCLE_3)
	s_cvt_u32_f32 s2, s2
	s_mul_i32 s3, s3, s2
	s_delay_alu instid0(SALU_CYCLE_1) | instskip(NEXT) | instid1(SALU_CYCLE_1)
	s_mul_hi_u32 s3, s2, s3
	s_add_co_i32 s2, s2, s3
	s_delay_alu instid0(SALU_CYCLE_1) | instskip(SKIP_1) | instid1(SALU_CYCLE_1)
	v_mul_hi_u32 v2, v1, s2
	s_and_b64 s[2:3], s[12:13], 0xffffffff00000000
	s_cmp_lg_u64 s[2:3], 0
	s_mov_b32 s3, 0
	s_delay_alu instid0(VALU_DEP_1) | instskip(NEXT) | instid1(VALU_DEP_1)
	v_mul_lo_u32 v3, v2, s4
	v_dual_add_nc_u32 v4, 1, v2 :: v_dual_sub_nc_u32 v3, v1, v3
	s_delay_alu instid0(VALU_DEP_1) | instskip(SKIP_1) | instid1(VALU_DEP_2)
	v_subrev_nc_u32_e32 v5, s4, v3
	v_cmp_le_u32_e32 vcc_lo, s4, v3
	v_dual_cndmask_b32 v2, v2, v4, vcc_lo :: v_dual_cndmask_b32 v4, v3, v5, vcc_lo
	s_delay_alu instid0(VALU_DEP_1) | instskip(NEXT) | instid1(VALU_DEP_2)
	v_dual_mov_b32 v3, 0 :: v_dual_add_nc_u32 v5, 1, v2
	v_cmp_le_u32_e32 vcc_lo, s4, v4
	s_delay_alu instid0(VALU_DEP_2)
	v_cndmask_b32_e32 v2, v2, v5, vcc_lo
	s_cbranch_scc0 .LBB7_12
; %bb.4:
	s_ashr_i32 s16, s13, 31
	s_delay_alu instid0(VALU_DEP_1)
	v_add_nc_u64_e32 v[4:5], 0, v[2:3]
	s_mov_b32 s17, s16
	v_mov_b32_e32 v7, v3
	s_add_nc_u64 s[18:19], s[12:13], s[16:17]
	v_mov_b32_e32 v9, v3
	s_xor_b64 s[18:19], s[18:19], s[16:17]
	v_mov_b32_e32 v13, v3
	s_cvt_f32_u32 s2, s18
	s_cvt_f32_u32 s15, s19
	s_sub_nc_u64 s[24:25], 0, s[18:19]
	v_dual_mov_b32 v6, v4 :: v_dual_mov_b32 v8, v5
	s_delay_alu instid0(SALU_CYCLE_1) | instskip(NEXT) | instid1(SALU_CYCLE_3)
	s_fmamk_f32 s2, s15, 0x4f800000, s2
	v_s_rcp_f32 s2, s2
	s_delay_alu instid0(TRANS32_DEP_1) | instskip(NEXT) | instid1(SALU_CYCLE_3)
	s_mul_f32 s2, s2, 0x5f7ffffc
	s_mul_f32 s15, s2, 0x2f800000
	s_delay_alu instid0(SALU_CYCLE_3) | instskip(NEXT) | instid1(SALU_CYCLE_3)
	s_trunc_f32 s15, s15
	s_fmamk_f32 s2, s15, 0xcf800000, s2
	s_cvt_u32_f32 s23, s15
	s_delay_alu instid0(SALU_CYCLE_2) | instskip(NEXT) | instid1(SALU_CYCLE_3)
	s_cvt_u32_f32 s22, s2
	s_mul_u64 s[26:27], s[24:25], s[22:23]
	s_delay_alu instid0(SALU_CYCLE_1)
	s_mul_hi_u32 s29, s22, s27
	s_mul_i32 s28, s22, s27
	s_mul_hi_u32 s2, s22, s26
	s_mul_i32 s17, s23, s26
	s_add_nc_u64 s[28:29], s[2:3], s[28:29]
	s_mul_hi_u32 s15, s23, s26
	s_mul_hi_u32 s30, s23, s27
	s_add_co_u32 s2, s28, s17
	s_add_co_ci_u32 s2, s29, s15
	s_mul_i32 s26, s23, s27
	s_add_co_ci_u32 s27, s30, 0
	s_delay_alu instid0(SALU_CYCLE_1) | instskip(NEXT) | instid1(SALU_CYCLE_1)
	s_add_nc_u64 s[26:27], s[2:3], s[26:27]
	s_add_co_u32 s22, s22, s26
	s_cselect_b32 s2, -1, 0
	s_delay_alu instid0(SALU_CYCLE_1) | instskip(SKIP_1) | instid1(SALU_CYCLE_1)
	s_cmp_lg_u32 s2, 0
	s_add_co_ci_u32 s23, s23, s27
	s_mul_u64 s[24:25], s[24:25], s[22:23]
	s_delay_alu instid0(SALU_CYCLE_1)
	s_mul_hi_u32 s27, s22, s25
	s_mul_i32 s26, s22, s25
	s_mul_hi_u32 s2, s22, s24
	s_mul_i32 s17, s23, s24
	s_add_nc_u64 s[26:27], s[2:3], s[26:27]
	s_mul_hi_u32 s15, s23, s24
	s_mul_hi_u32 s28, s23, s25
	s_add_co_u32 s2, s26, s17
	s_add_co_ci_u32 s2, s27, s15
	s_mul_i32 s24, s23, s25
	s_add_co_ci_u32 s25, s28, 0
	s_delay_alu instid0(SALU_CYCLE_1) | instskip(NEXT) | instid1(SALU_CYCLE_1)
	s_add_nc_u64 s[24:25], s[2:3], s[24:25]
	s_add_co_u32 s22, s22, s24
	s_cselect_b32 s2, -1, 0
	v_mul_hi_u32 v12, v4, s22
	s_cmp_lg_u32 s2, 0
	s_add_co_ci_u32 s2, s23, s25
	s_mov_b64 s[24:25], 0xffffffff
	v_mul_u64_e32 v[6:7], s[2:3], v[6:7]
	s_and_b64 s[24:25], s[22:23], s[24:25]
	s_delay_alu instid0(SALU_CYCLE_1) | instskip(SKIP_1) | instid1(VALU_DEP_3)
	v_mul_u64_e32 v[10:11], s[24:25], v[8:9]
	v_mul_u64_e32 v[8:9], s[2:3], v[8:9]
	v_add_nc_u64_e32 v[6:7], v[12:13], v[6:7]
	s_delay_alu instid0(VALU_DEP_1) | instskip(NEXT) | instid1(VALU_DEP_2)
	v_add_co_u32 v6, vcc_lo, v6, v10
	v_add_co_ci_u32_e32 v12, vcc_lo, v7, v11, vcc_lo
	s_delay_alu instid0(VALU_DEP_4) | instskip(NEXT) | instid1(VALU_DEP_1)
	v_add_co_ci_u32_e32 v9, vcc_lo, 0, v9, vcc_lo
	v_add_nc_u64_e32 v[6:7], v[12:13], v[8:9]
	s_delay_alu instid0(VALU_DEP_1) | instskip(NEXT) | instid1(VALU_DEP_1)
	v_mul_u64_e32 v[8:9], s[18:19], v[6:7]
	v_sub_nc_u32_e32 v10, v5, v9
	s_delay_alu instid0(VALU_DEP_2) | instskip(NEXT) | instid1(VALU_DEP_1)
	v_sub_co_u32 v4, vcc_lo, v4, v8
	v_sub_co_ci_u32_e64 v9, null, v5, v9, vcc_lo
	s_delay_alu instid0(VALU_DEP_3) | instskip(NEXT) | instid1(VALU_DEP_3)
	v_subrev_co_ci_u32_e64 v8, null, s19, v10, vcc_lo
	v_sub_co_u32 v12, s2, v4, s18
	v_cmp_le_u32_e32 vcc_lo, s18, v4
	s_delay_alu instid0(VALU_DEP_3) | instskip(NEXT) | instid1(VALU_DEP_3)
	v_subrev_co_ci_u32_e64 v8, null, 0, v8, s2
	v_cmp_le_u32_e64 s2, s18, v12
	v_add_nc_u64_e32 v[10:11], 2, v[6:7]
	v_cndmask_b32_e64 v14, 0, -1, vcc_lo
	s_delay_alu instid0(VALU_DEP_4) | instskip(SKIP_3) | instid1(VALU_DEP_1)
	v_cmp_eq_u32_e32 vcc_lo, s19, v8
	v_add_nc_u64_e32 v[4:5], 1, v[6:7]
	v_cndmask_b32_e64 v12, 0, -1, s2
	v_cmp_le_u32_e64 s2, s19, v8
	v_cndmask_b32_e64 v13, 0, -1, s2
	v_cmp_eq_u32_e64 s2, s19, v9
	s_delay_alu instid0(VALU_DEP_2) | instskip(SKIP_2) | instid1(VALU_DEP_3)
	v_cndmask_b32_e32 v8, v13, v12, vcc_lo
	v_cmp_le_u32_e32 vcc_lo, s19, v9
	v_cndmask_b32_e64 v12, 0, -1, vcc_lo
	v_cmp_ne_u32_e32 vcc_lo, 0, v8
	s_delay_alu instid0(VALU_DEP_2) | instskip(SKIP_1) | instid1(VALU_DEP_2)
	v_dual_cndmask_b32 v8, v12, v14, s2 :: v_dual_cndmask_b32 v5, v5, v11, vcc_lo
	v_cndmask_b32_e32 v4, v4, v10, vcc_lo
	v_cmp_ne_u32_e32 vcc_lo, 0, v8
	s_delay_alu instid0(VALU_DEP_2) | instskip(SKIP_1) | instid1(VALU_DEP_2)
	v_dual_cndmask_b32 v7, v7, v5 :: v_dual_cndmask_b32 v6, v6, v4
	v_dual_mov_b32 v5, s16 :: v_dual_mov_b32 v4, s16
	v_xor_b32_e32 v7, s16, v7
	s_delay_alu instid0(VALU_DEP_3) | instskip(NEXT) | instid1(VALU_DEP_1)
	v_xor_b32_e32 v6, s16, v6
	v_sub_nc_u64_e32 v[4:5], v[6:7], v[4:5]
	s_and_not1_b32 vcc_lo, exec_lo, s3
	s_cbranch_vccnz .LBB7_6
.LBB7_5:
	v_cvt_f32_u32_e32 v4, s12
	s_sub_co_i32 s2, 0, s12
	s_delay_alu instid0(VALU_DEP_1) | instskip(SKIP_1) | instid1(TRANS32_DEP_1)
	v_rcp_iflag_f32_e32 v4, v4
	v_nop
	v_mul_f32_e32 v4, 0x4f7ffffe, v4
	s_delay_alu instid0(VALU_DEP_1) | instskip(NEXT) | instid1(VALU_DEP_1)
	v_cvt_u32_f32_e32 v4, v4
	v_mul_lo_u32 v5, s2, v4
	s_delay_alu instid0(VALU_DEP_1) | instskip(NEXT) | instid1(VALU_DEP_1)
	v_mul_hi_u32 v5, v4, v5
	v_add_nc_u32_e32 v4, v4, v5
	s_delay_alu instid0(VALU_DEP_1) | instskip(NEXT) | instid1(VALU_DEP_1)
	v_mul_hi_u32 v4, v2, v4
	v_mul_lo_u32 v5, v4, s12
	s_delay_alu instid0(VALU_DEP_1) | instskip(NEXT) | instid1(VALU_DEP_1)
	v_dual_add_nc_u32 v6, 1, v4 :: v_dual_sub_nc_u32 v5, v2, v5
	v_subrev_nc_u32_e32 v7, s12, v5
	v_cmp_le_u32_e32 vcc_lo, s12, v5
	s_delay_alu instid0(VALU_DEP_2) | instskip(NEXT) | instid1(VALU_DEP_1)
	v_dual_cndmask_b32 v5, v5, v7 :: v_dual_cndmask_b32 v4, v4, v6
	v_cmp_le_u32_e32 vcc_lo, s12, v5
	s_delay_alu instid0(VALU_DEP_2) | instskip(NEXT) | instid1(VALU_DEP_1)
	v_dual_mov_b32 v5, 0 :: v_dual_add_nc_u32 v6, 1, v4
	v_cndmask_b32_e32 v4, v4, v6, vcc_lo
.LBB7_6:
	s_delay_alu instid0(VALU_DEP_1) | instskip(SKIP_1) | instid1(VALU_DEP_2)
	v_mul_u64_e32 v[6:7], s[12:13], v[4:5]
	v_mul_lo_u32 v5, v2, s4
	v_sub_nc_u64_e32 v[8:9], v[2:3], v[6:7]
	s_delay_alu instid0(VALU_DEP_2)
	v_sub_nc_u32_e32 v6, v1, v5
.LBB7_7:
	s_bfe_u32 s2, ttmp6, 0x40010
	s_and_b32 s3, ttmp7, 0xffff
	s_add_co_i32 s2, s2, 1
	s_bfe_u32 s13, ttmp6, 0x40004
	s_mul_i32 s2, s3, s2
	s_xor_b32 s18, s21, -1
	s_lshr_b32 s15, s14, 16
	s_add_co_i32 s13, s13, s2
	v_bfe_u32 v1, v0, 10, 10
	s_cmp_eq_u32 s20, 0
	v_mov_b32_e32 v11, 0
	s_cselect_b32 s2, s3, s13
	s_ashr_i32 s17, s10, 31
	v_mad_u32 v10, s2, s15, v1
	s_mov_b32 s16, s10
	s_mov_b32 s2, exec_lo
	s_delay_alu instid0(VALU_DEP_1)
	v_cmpx_gt_i64_e64 s[16:17], v[10:11]
	s_cbranch_execz .LBB7_23
; %bb.8:
	s_bfe_u32 s2, ttmp6, 0x4000c
	s_and_b32 s3, ttmp6, 15
	s_add_co_i32 s2, s2, 1
	s_and_b32 s10, s14, 0xffff
	s_mul_i32 s2, ttmp9, s2
	v_and_b32_e32 v0, 0x3ff, v0
	s_add_co_i32 s3, s3, s2
	s_cmp_eq_u32 s20, 0
	v_mov_b32_e32 v1, v11
	s_cselect_b32 s2, ttmp9, s3
	s_ashr_i32 s15, s11, 31
	v_mad_u32 v0, s2, s10, v0
	s_mov_b32 s14, s11
	s_delay_alu instid0(VALU_DEP_1) | instid1(SALU_CYCLE_1)
	v_cmp_gt_i64_e32 vcc_lo, s[14:15], v[0:1]
	s_and_b32 exec_lo, exec_lo, vcc_lo
	s_cbranch_execz .LBB7_23
; %bb.9:
	s_ashr_i32 s13, s9, 31
	v_cmp_gt_i32_e64 s2, s8, v4
	v_cmp_gt_i64_e32 vcc_lo, s[12:13], v[8:9]
	v_cmp_gt_i32_e64 s3, s4, v6
	s_and_b32 s2, vcc_lo, s2
	s_delay_alu instid0(SALU_CYCLE_1) | instskip(NEXT) | instid1(SALU_CYCLE_1)
	s_and_b32 s2, s3, s2
	s_and_b32 exec_lo, exec_lo, s2
	s_cbranch_execz .LBB7_23
; %bb.10:
	v_cndmask_b32_e64 v5, 0, 1, s18
	s_and_not1_b32 vcc_lo, exec_lo, s18
	s_cbranch_vccnz .LBB7_13
; %bb.11:
	v_mad_nc_u64_u32 v[12:13], v2, s12, v[8:9]
	s_delay_alu instid0(VALU_DEP_1) | instskip(NEXT) | instid1(VALU_DEP_2)
	v_mad_u32 v7, v3, s12, v13
	v_mad_nc_u64_u32 v[14:15], v12, s16, v[10:11]
	s_delay_alu instid0(VALU_DEP_2) | instskip(NEXT) | instid1(VALU_DEP_1)
	v_mad_u32 v7, v2, s13, v7
	v_mad_u32 v7, v7, s16, v15
	s_delay_alu instid0(VALU_DEP_1) | instskip(NEXT) | instid1(VALU_DEP_4)
	v_mad_u32 v7, v12, s17, v7
	v_mad_nc_u64_u32 v[12:13], v14, s14, v[0:1]
	s_delay_alu instid0(VALU_DEP_1) | instskip(NEXT) | instid1(VALU_DEP_1)
	v_mad_u32 v7, v7, s14, v13
	v_mad_u32 v13, v14, s15, v7
	s_cbranch_execz .LBB7_14
	s_branch .LBB7_15
.LBB7_12:
                                        ; implicit-def: $vgpr4_vgpr5
	s_branch .LBB7_5
.LBB7_13:
                                        ; implicit-def: $vgpr12_vgpr13
.LBB7_14:
	v_mad_nc_i64_i32 v[8:9], v4, s12, v[8:9]
	s_ashr_i32 s2, s4, 31
	s_delay_alu instid0(VALU_DEP_1) | instskip(NEXT) | instid1(VALU_DEP_1)
	v_mad_nc_u64_u32 v[10:11], v8, s16, v[10:11]
	v_mad_u32 v7, v9, s16, v11
	s_delay_alu instid0(VALU_DEP_2) | instskip(NEXT) | instid1(VALU_DEP_2)
	v_mad_nc_u64_u32 v[0:1], v10, s14, v[0:1]
	v_mad_u32 v7, v8, s17, v7
	s_delay_alu instid0(VALU_DEP_1) | instskip(SKIP_1) | instid1(VALU_DEP_1)
	v_mad_u32 v1, v7, s14, v1
	v_ashrrev_i32_e32 v7, 31, v6
	v_mad_nc_u64_u32 v[12:13], v0, s4, v[6:7]
	s_delay_alu instid0(VALU_DEP_3) | instskip(NEXT) | instid1(VALU_DEP_1)
	v_mad_u32 v1, v10, s15, v1
	v_mad_u32 v1, v1, s4, v13
	s_delay_alu instid0(VALU_DEP_1)
	v_mad_u32 v13, v0, s2, v1
.LBB7_15:
	s_load_b64 s[2:3], s[0:1], 0x10
	s_wait_kmcnt 0x0
	s_delay_alu instid0(VALU_DEP_1)
	v_lshl_add_u64 v[0:1], v[12:13], 3, s[2:3]
	global_load_b64 v[8:9], v[0:1], off
	s_wait_loadcnt 0x0
	v_cmp_ne_u64_e32 vcc_lo, -1, v[8:9]
	s_and_b32 exec_lo, exec_lo, vcc_lo
	s_cbranch_execz .LBB7_23
; %bb.16:
	s_load_b128 s[8:11], s[0:1], 0x0
	v_cmp_ne_u32_e32 vcc_lo, 1, v5
	s_wait_xcnt 0x0
	s_mov_b32 s0, -1
	s_wait_kmcnt 0x0
	v_lshl_add_u64 v[0:1], v[12:13], 1, s[10:11]
	s_cbranch_vccnz .LBB7_20
; %bb.17:
	s_ashr_i32 s1, s5, 31
	s_mov_b32 s0, s5
	s_ashr_i32 s3, s6, 31
	s_mov_b32 s2, s6
	;; [unrolled: 2-line block ×3, first 2 shown]
	s_mul_u64 s[0:1], s[2:3], s[0:1]
	v_mov_b32_e32 v13, 0
	s_mul_u64 s[0:1], s[0:1], s[10:11]
	s_delay_alu instid0(SALU_CYCLE_1) | instskip(SKIP_1) | instid1(VALU_DEP_1)
	v_mul_u64_e32 v[2:3], s[0:1], v[2:3]
	s_mov_b32 s1, 0
	v_lshl_add_u64 v[2:3], v[2:3], 1, s[8:9]
	s_delay_alu instid0(VALU_DEP_1) | instskip(NEXT) | instid1(VALU_DEP_1)
	v_lshl_add_u64 v[2:3], v[8:9], 1, v[2:3]
	v_and_b32_e32 v12, 2, v2
	s_delay_alu instid0(VALU_DEP_1) | instskip(SKIP_1) | instid1(VALU_DEP_2)
	v_sub_nc_u64_e32 v[10:11], 0, v[12:13]
	v_cmp_eq_u64_e32 vcc_lo, 0, v[12:13]
	v_add_nc_u64_e32 v[2:3], v[2:3], v[10:11]
	global_load_u16 v5, v[0:1], off
	global_load_b32 v11, v[2:3], off
	s_wait_loadcnt 0x1
	v_lshlrev_b32_e32 v5, 16, v5
.LBB7_18:                               ; =>This Inner Loop Header: Depth=1
	s_wait_loadcnt 0x0
	v_lshrrev_b32_e32 v7, 16, v11
	v_and_b32_e32 v10, 0xffff, v11
	s_delay_alu instid0(VALU_DEP_1) | instskip(NEXT) | instid1(VALU_DEP_1)
	v_cndmask_b32_e32 v7, v7, v10, vcc_lo
	v_lshlrev_b32_e32 v7, 16, v7
	s_delay_alu instid0(VALU_DEP_1) | instskip(NEXT) | instid1(VALU_DEP_1)
	v_add_f32_e32 v7, v5, v7
	v_bfe_u32 v12, v7, 16, 1
	v_cmp_o_f32_e64 s0, v7, v7
	s_delay_alu instid0(VALU_DEP_2) | instskip(NEXT) | instid1(VALU_DEP_1)
	v_add3_u32 v12, v7, v12, 0x7fff
	v_lshrrev_b32_e32 v12, 16, v12
	s_delay_alu instid0(VALU_DEP_1) | instskip(NEXT) | instid1(VALU_DEP_1)
	v_cndmask_b32_e64 v7, 0x7fc0, v12, s0
	v_lshl_or_b32 v10, v7, 16, v10
	v_and_or_b32 v7, 0xffff0000, v11, v7
	s_delay_alu instid0(VALU_DEP_1)
	v_cndmask_b32_e32 v10, v10, v7, vcc_lo
	global_atomic_cmpswap_b32 v7, v[2:3], v[10:11], off th:TH_ATOMIC_RETURN scope:SCOPE_DEV
	s_wait_loadcnt 0x0
	v_cmp_eq_u32_e64 s0, v11, v7
	v_mov_b32_e32 v11, v7
	s_or_b32 s1, s0, s1
	s_delay_alu instid0(SALU_CYCLE_1)
	s_and_not1_b32 exec_lo, exec_lo, s1
	s_cbranch_execnz .LBB7_18
; %bb.19:
	s_or_b32 exec_lo, exec_lo, s1
	s_mov_b32 s0, 0
.LBB7_20:
	s_delay_alu instid0(SALU_CYCLE_1)
	s_and_b32 vcc_lo, exec_lo, s0
	s_cbranch_vccz .LBB7_23
; %bb.21:
	s_ashr_i32 s1, s5, 31
	s_mov_b32 s0, s5
	s_ashr_i32 s3, s6, 31
	s_mov_b32 s2, s6
	;; [unrolled: 2-line block ×3, first 2 shown]
	s_mul_u64 s[0:1], s[2:3], s[0:1]
	s_ashr_i32 s5, s4, 31
	s_mul_u64 s[0:1], s[0:1], s[10:11]
	v_ashrrev_i32_e32 v7, 31, v6
	v_mad_nc_u64_u32 v[2:3], s0, v4, v[8:9]
	s_delay_alu instid0(VALU_DEP_1) | instskip(SKIP_2) | instid1(VALU_DEP_1)
	v_mad_u32 v3, s1, v4, v3
	v_ashrrev_i32_e32 v4, 31, v4
	s_mov_b32 s1, 0
	v_mad_u32 v3, s0, v4, v3
	s_delay_alu instid0(VALU_DEP_1) | instskip(NEXT) | instid1(VALU_DEP_1)
	v_mul_u64_e32 v[2:3], s[4:5], v[2:3]
	v_lshl_add_u64 v[2:3], v[2:3], 1, s[8:9]
	s_delay_alu instid0(VALU_DEP_1) | instskip(NEXT) | instid1(VALU_DEP_1)
	v_lshl_add_u64 v[2:3], v[6:7], 1, v[2:3]
	v_dual_mov_b32 v7, 0 :: v_dual_bitop2_b32 v6, 2, v2 bitop3:0x40
	s_delay_alu instid0(VALU_DEP_1) | instskip(SKIP_1) | instid1(VALU_DEP_2)
	v_sub_nc_u64_e32 v[4:5], 0, v[6:7]
	v_cmp_eq_u64_e32 vcc_lo, 0, v[6:7]
	v_add_nc_u64_e32 v[2:3], v[2:3], v[4:5]
	global_load_u16 v4, v[0:1], off
	global_load_b32 v5, v[2:3], off
	s_wait_loadcnt 0x1
	s_wait_xcnt 0x1
	v_lshlrev_b32_e32 v0, 16, v4
.LBB7_22:                               ; =>This Inner Loop Header: Depth=1
	s_wait_loadcnt 0x0
	v_lshrrev_b32_e32 v1, 16, v5
	v_and_b32_e32 v4, 0xffff, v5
	s_delay_alu instid0(VALU_DEP_1) | instskip(NEXT) | instid1(VALU_DEP_1)
	v_cndmask_b32_e32 v1, v1, v4, vcc_lo
	v_lshlrev_b32_e32 v1, 16, v1
	s_delay_alu instid0(VALU_DEP_1) | instskip(NEXT) | instid1(VALU_DEP_1)
	v_add_f32_e32 v1, v0, v1
	v_bfe_u32 v6, v1, 16, 1
	v_cmp_o_f32_e64 s0, v1, v1
	s_delay_alu instid0(VALU_DEP_2) | instskip(NEXT) | instid1(VALU_DEP_1)
	v_add3_u32 v6, v1, v6, 0x7fff
	v_lshrrev_b32_e32 v6, 16, v6
	s_delay_alu instid0(VALU_DEP_1) | instskip(NEXT) | instid1(VALU_DEP_1)
	v_cndmask_b32_e64 v1, 0x7fc0, v6, s0
	v_lshl_or_b32 v4, v1, 16, v4
	v_and_or_b32 v1, 0xffff0000, v5, v1
	s_delay_alu instid0(VALU_DEP_1)
	v_cndmask_b32_e32 v4, v4, v1, vcc_lo
	global_atomic_cmpswap_b32 v1, v[2:3], v[4:5], off th:TH_ATOMIC_RETURN scope:SCOPE_DEV
	s_wait_loadcnt 0x0
	v_cmp_eq_u32_e64 s0, v5, v1
	v_mov_b32_e32 v5, v1
	s_or_b32 s1, s0, s1
	s_delay_alu instid0(SALU_CYCLE_1)
	s_and_not1_b32 exec_lo, exec_lo, s1
	s_cbranch_execnz .LBB7_22
.LBB7_23:
	s_endpgm
	.section	.rodata,"a",@progbits
	.p2align	6, 0x0
	.amdhsa_kernel _ZN2at6native12_GLOBAL__N_149max_pool3d_with_indices_backward_single_out_frameIN3c108BFloat16EEEvPT_PKS5_PKliiiiiiiiib
		.amdhsa_group_segment_fixed_size 0
		.amdhsa_private_segment_fixed_size 0
		.amdhsa_kernarg_size 320
		.amdhsa_user_sgpr_count 2
		.amdhsa_user_sgpr_dispatch_ptr 0
		.amdhsa_user_sgpr_queue_ptr 0
		.amdhsa_user_sgpr_kernarg_segment_ptr 1
		.amdhsa_user_sgpr_dispatch_id 0
		.amdhsa_user_sgpr_kernarg_preload_length 0
		.amdhsa_user_sgpr_kernarg_preload_offset 0
		.amdhsa_user_sgpr_private_segment_size 0
		.amdhsa_wavefront_size32 1
		.amdhsa_uses_dynamic_stack 0
		.amdhsa_enable_private_segment 0
		.amdhsa_system_sgpr_workgroup_id_x 1
		.amdhsa_system_sgpr_workgroup_id_y 1
		.amdhsa_system_sgpr_workgroup_id_z 1
		.amdhsa_system_sgpr_workgroup_info 0
		.amdhsa_system_vgpr_workitem_id 2
		.amdhsa_next_free_vgpr 16
		.amdhsa_next_free_sgpr 31
		.amdhsa_named_barrier_count 0
		.amdhsa_reserve_vcc 1
		.amdhsa_float_round_mode_32 0
		.amdhsa_float_round_mode_16_64 0
		.amdhsa_float_denorm_mode_32 3
		.amdhsa_float_denorm_mode_16_64 3
		.amdhsa_fp16_overflow 0
		.amdhsa_memory_ordered 1
		.amdhsa_forward_progress 1
		.amdhsa_inst_pref_size 19
		.amdhsa_round_robin_scheduling 0
		.amdhsa_exception_fp_ieee_invalid_op 0
		.amdhsa_exception_fp_denorm_src 0
		.amdhsa_exception_fp_ieee_div_zero 0
		.amdhsa_exception_fp_ieee_overflow 0
		.amdhsa_exception_fp_ieee_underflow 0
		.amdhsa_exception_fp_ieee_inexact 0
		.amdhsa_exception_int_div_zero 0
	.end_amdhsa_kernel
	.section	.text._ZN2at6native12_GLOBAL__N_149max_pool3d_with_indices_backward_single_out_frameIN3c108BFloat16EEEvPT_PKS5_PKliiiiiiiiib,"axG",@progbits,_ZN2at6native12_GLOBAL__N_149max_pool3d_with_indices_backward_single_out_frameIN3c108BFloat16EEEvPT_PKS5_PKliiiiiiiiib,comdat
.Lfunc_end7:
	.size	_ZN2at6native12_GLOBAL__N_149max_pool3d_with_indices_backward_single_out_frameIN3c108BFloat16EEEvPT_PKS5_PKliiiiiiiiib, .Lfunc_end7-_ZN2at6native12_GLOBAL__N_149max_pool3d_with_indices_backward_single_out_frameIN3c108BFloat16EEEvPT_PKS5_PKliiiiiiiiib
                                        ; -- End function
	.set _ZN2at6native12_GLOBAL__N_149max_pool3d_with_indices_backward_single_out_frameIN3c108BFloat16EEEvPT_PKS5_PKliiiiiiiiib.num_vgpr, 16
	.set _ZN2at6native12_GLOBAL__N_149max_pool3d_with_indices_backward_single_out_frameIN3c108BFloat16EEEvPT_PKS5_PKliiiiiiiiib.num_agpr, 0
	.set _ZN2at6native12_GLOBAL__N_149max_pool3d_with_indices_backward_single_out_frameIN3c108BFloat16EEEvPT_PKS5_PKliiiiiiiiib.numbered_sgpr, 31
	.set _ZN2at6native12_GLOBAL__N_149max_pool3d_with_indices_backward_single_out_frameIN3c108BFloat16EEEvPT_PKS5_PKliiiiiiiiib.num_named_barrier, 0
	.set _ZN2at6native12_GLOBAL__N_149max_pool3d_with_indices_backward_single_out_frameIN3c108BFloat16EEEvPT_PKS5_PKliiiiiiiiib.private_seg_size, 0
	.set _ZN2at6native12_GLOBAL__N_149max_pool3d_with_indices_backward_single_out_frameIN3c108BFloat16EEEvPT_PKS5_PKliiiiiiiiib.uses_vcc, 1
	.set _ZN2at6native12_GLOBAL__N_149max_pool3d_with_indices_backward_single_out_frameIN3c108BFloat16EEEvPT_PKS5_PKliiiiiiiiib.uses_flat_scratch, 0
	.set _ZN2at6native12_GLOBAL__N_149max_pool3d_with_indices_backward_single_out_frameIN3c108BFloat16EEEvPT_PKS5_PKliiiiiiiiib.has_dyn_sized_stack, 0
	.set _ZN2at6native12_GLOBAL__N_149max_pool3d_with_indices_backward_single_out_frameIN3c108BFloat16EEEvPT_PKS5_PKliiiiiiiiib.has_recursion, 0
	.set _ZN2at6native12_GLOBAL__N_149max_pool3d_with_indices_backward_single_out_frameIN3c108BFloat16EEEvPT_PKS5_PKliiiiiiiiib.has_indirect_call, 0
	.section	.AMDGPU.csdata,"",@progbits
; Kernel info:
; codeLenInByte = 2388
; TotalNumSgprs: 33
; NumVgprs: 16
; ScratchSize: 0
; MemoryBound: 0
; FloatMode: 240
; IeeeMode: 1
; LDSByteSize: 0 bytes/workgroup (compile time only)
; SGPRBlocks: 0
; VGPRBlocks: 0
; NumSGPRsForWavesPerEU: 33
; NumVGPRsForWavesPerEU: 16
; NamedBarCnt: 0
; Occupancy: 16
; WaveLimiterHint : 1
; COMPUTE_PGM_RSRC2:SCRATCH_EN: 0
; COMPUTE_PGM_RSRC2:USER_SGPR: 2
; COMPUTE_PGM_RSRC2:TRAP_HANDLER: 0
; COMPUTE_PGM_RSRC2:TGID_X_EN: 1
; COMPUTE_PGM_RSRC2:TGID_Y_EN: 1
; COMPUTE_PGM_RSRC2:TGID_Z_EN: 1
; COMPUTE_PGM_RSRC2:TIDIG_COMP_CNT: 2
	.section	.AMDGPU.gpr_maximums,"",@progbits
	.set amdgpu.max_num_vgpr, 0
	.set amdgpu.max_num_agpr, 0
	.set amdgpu.max_num_sgpr, 0
	.section	.AMDGPU.csdata,"",@progbits
	.type	__hip_cuid_c402b024c315487,@object ; @__hip_cuid_c402b024c315487
	.section	.bss,"aw",@nobits
	.globl	__hip_cuid_c402b024c315487
__hip_cuid_c402b024c315487:
	.byte	0                               ; 0x0
	.size	__hip_cuid_c402b024c315487, 1

	.ident	"AMD clang version 22.0.0git (https://github.com/RadeonOpenCompute/llvm-project roc-7.2.4 26084 f58b06dce1f9c15707c5f808fd002e18c2accf7e)"
	.section	".note.GNU-stack","",@progbits
	.addrsig
	.addrsig_sym __hip_cuid_c402b024c315487
	.amdgpu_metadata
---
amdhsa.kernels:
  - .args:
      - .address_space:  global
        .offset:         0
        .size:           8
        .value_kind:     global_buffer
      - .address_space:  global
        .offset:         8
        .size:           8
        .value_kind:     global_buffer
      - .address_space:  global
        .offset:         16
        .size:           8
        .value_kind:     global_buffer
      - .offset:         24
        .size:           4
        .value_kind:     by_value
      - .offset:         28
        .size:           4
        .value_kind:     by_value
      - .offset:         32
        .size:           4
        .value_kind:     by_value
      - .offset:         36
        .size:           4
        .value_kind:     by_value
      - .offset:         40
        .size:           4
        .value_kind:     by_value
      - .offset:         44
        .size:           4
        .value_kind:     by_value
      - .offset:         48
        .size:           4
        .value_kind:     by_value
      - .offset:         52
        .size:           4
        .value_kind:     by_value
      - .offset:         56
        .size:           4
        .value_kind:     by_value
      - .offset:         60
        .size:           4
        .value_kind:     by_value
      - .offset:         64
        .size:           4
        .value_kind:     by_value
      - .offset:         68
        .size:           4
        .value_kind:     by_value
      - .offset:         72
        .size:           4
        .value_kind:     by_value
      - .offset:         76
        .size:           4
        .value_kind:     by_value
      - .offset:         80
        .size:           4
        .value_kind:     by_value
      - .offset:         84
        .size:           4
        .value_kind:     by_value
      - .offset:         88
        .size:           4
        .value_kind:     by_value
      - .offset:         92
        .size:           4
        .value_kind:     by_value
      - .offset:         96
        .size:           4
        .value_kind:     by_value
      - .offset:         100
        .size:           4
        .value_kind:     by_value
      - .offset:         104
        .size:           4
        .value_kind:     by_value
      - .offset:         108
        .size:           1
        .value_kind:     by_value
      - .offset:         112
        .size:           4
        .value_kind:     hidden_block_count_x
      - .offset:         116
        .size:           4
        .value_kind:     hidden_block_count_y
      - .offset:         120
        .size:           4
        .value_kind:     hidden_block_count_z
      - .offset:         124
        .size:           2
        .value_kind:     hidden_group_size_x
      - .offset:         126
        .size:           2
        .value_kind:     hidden_group_size_y
      - .offset:         128
        .size:           2
        .value_kind:     hidden_group_size_z
      - .offset:         130
        .size:           2
        .value_kind:     hidden_remainder_x
      - .offset:         132
        .size:           2
        .value_kind:     hidden_remainder_y
      - .offset:         134
        .size:           2
        .value_kind:     hidden_remainder_z
      - .offset:         152
        .size:           8
        .value_kind:     hidden_global_offset_x
      - .offset:         160
        .size:           8
        .value_kind:     hidden_global_offset_y
      - .offset:         168
        .size:           8
        .value_kind:     hidden_global_offset_z
      - .offset:         176
        .size:           2
        .value_kind:     hidden_grid_dims
    .group_segment_fixed_size: 0
    .kernarg_segment_align: 8
    .kernarg_segment_size: 368
    .language:       OpenCL C
    .language_version:
      - 2
      - 0
    .max_flat_workgroup_size: 1024
    .name:           _ZN2at6native12_GLOBAL__N_140max_pool3d_with_indices_single_out_frameIdEEvPKT_PS3_Pliiiiiiiiiiiiiiiiiiiiib
    .private_segment_fixed_size: 0
    .sgpr_count:     46
    .sgpr_spill_count: 0
    .symbol:         _ZN2at6native12_GLOBAL__N_140max_pool3d_with_indices_single_out_frameIdEEvPKT_PS3_Pliiiiiiiiiiiiiiiiiiiiib.kd
    .uniform_work_group_size: 1
    .uses_dynamic_stack: false
    .vgpr_count:     36
    .vgpr_spill_count: 0
    .wavefront_size: 32
  - .args:
      - .address_space:  global
        .offset:         0
        .size:           8
        .value_kind:     global_buffer
      - .address_space:  global
        .offset:         8
        .size:           8
        .value_kind:     global_buffer
      - .address_space:  global
        .offset:         16
        .size:           8
        .value_kind:     global_buffer
      - .offset:         24
        .size:           4
        .value_kind:     by_value
      - .offset:         28
        .size:           4
        .value_kind:     by_value
      - .offset:         32
        .size:           4
        .value_kind:     by_value
      - .offset:         36
        .size:           4
        .value_kind:     by_value
      - .offset:         40
        .size:           4
        .value_kind:     by_value
      - .offset:         44
        .size:           4
        .value_kind:     by_value
      - .offset:         48
        .size:           4
        .value_kind:     by_value
      - .offset:         52
        .size:           4
        .value_kind:     by_value
      - .offset:         56
        .size:           4
        .value_kind:     by_value
      - .offset:         60
        .size:           4
        .value_kind:     by_value
      - .offset:         64
        .size:           4
        .value_kind:     by_value
      - .offset:         68
        .size:           4
        .value_kind:     by_value
      - .offset:         72
        .size:           4
        .value_kind:     by_value
      - .offset:         76
        .size:           4
        .value_kind:     by_value
      - .offset:         80
        .size:           4
        .value_kind:     by_value
      - .offset:         84
        .size:           4
        .value_kind:     by_value
      - .offset:         88
        .size:           4
        .value_kind:     by_value
      - .offset:         92
        .size:           4
        .value_kind:     by_value
      - .offset:         96
        .size:           4
        .value_kind:     by_value
      - .offset:         100
        .size:           4
        .value_kind:     by_value
      - .offset:         104
        .size:           4
        .value_kind:     by_value
      - .offset:         108
        .size:           1
        .value_kind:     by_value
      - .offset:         112
        .size:           4
        .value_kind:     hidden_block_count_x
      - .offset:         116
        .size:           4
        .value_kind:     hidden_block_count_y
      - .offset:         120
        .size:           4
        .value_kind:     hidden_block_count_z
      - .offset:         124
        .size:           2
        .value_kind:     hidden_group_size_x
      - .offset:         126
        .size:           2
        .value_kind:     hidden_group_size_y
      - .offset:         128
        .size:           2
        .value_kind:     hidden_group_size_z
      - .offset:         130
        .size:           2
        .value_kind:     hidden_remainder_x
      - .offset:         132
        .size:           2
        .value_kind:     hidden_remainder_y
      - .offset:         134
        .size:           2
        .value_kind:     hidden_remainder_z
      - .offset:         152
        .size:           8
        .value_kind:     hidden_global_offset_x
      - .offset:         160
        .size:           8
        .value_kind:     hidden_global_offset_y
      - .offset:         168
        .size:           8
        .value_kind:     hidden_global_offset_z
      - .offset:         176
        .size:           2
        .value_kind:     hidden_grid_dims
    .group_segment_fixed_size: 0
    .kernarg_segment_align: 8
    .kernarg_segment_size: 368
    .language:       OpenCL C
    .language_version:
      - 2
      - 0
    .max_flat_workgroup_size: 1024
    .name:           _ZN2at6native12_GLOBAL__N_140max_pool3d_with_indices_single_out_frameIfEEvPKT_PS3_Pliiiiiiiiiiiiiiiiiiiiib
    .private_segment_fixed_size: 0
    .sgpr_count:     46
    .sgpr_spill_count: 0
    .symbol:         _ZN2at6native12_GLOBAL__N_140max_pool3d_with_indices_single_out_frameIfEEvPKT_PS3_Pliiiiiiiiiiiiiiiiiiiiib.kd
    .uniform_work_group_size: 1
    .uses_dynamic_stack: false
    .vgpr_count:     35
    .vgpr_spill_count: 0
    .wavefront_size: 32
  - .args:
      - .address_space:  global
        .offset:         0
        .size:           8
        .value_kind:     global_buffer
      - .address_space:  global
        .offset:         8
        .size:           8
        .value_kind:     global_buffer
      - .address_space:  global
        .offset:         16
        .size:           8
        .value_kind:     global_buffer
      - .offset:         24
        .size:           4
        .value_kind:     by_value
      - .offset:         28
        .size:           4
        .value_kind:     by_value
      - .offset:         32
        .size:           4
        .value_kind:     by_value
      - .offset:         36
        .size:           4
        .value_kind:     by_value
      - .offset:         40
        .size:           4
        .value_kind:     by_value
      - .offset:         44
        .size:           4
        .value_kind:     by_value
      - .offset:         48
        .size:           4
        .value_kind:     by_value
      - .offset:         52
        .size:           4
        .value_kind:     by_value
      - .offset:         56
        .size:           4
        .value_kind:     by_value
      - .offset:         60
        .size:           4
        .value_kind:     by_value
      - .offset:         64
        .size:           4
        .value_kind:     by_value
      - .offset:         68
        .size:           4
        .value_kind:     by_value
      - .offset:         72
        .size:           4
        .value_kind:     by_value
      - .offset:         76
        .size:           4
        .value_kind:     by_value
      - .offset:         80
        .size:           4
        .value_kind:     by_value
      - .offset:         84
        .size:           4
        .value_kind:     by_value
      - .offset:         88
        .size:           4
        .value_kind:     by_value
      - .offset:         92
        .size:           4
        .value_kind:     by_value
      - .offset:         96
        .size:           4
        .value_kind:     by_value
      - .offset:         100
        .size:           4
        .value_kind:     by_value
      - .offset:         104
        .size:           4
        .value_kind:     by_value
      - .offset:         108
        .size:           1
        .value_kind:     by_value
      - .offset:         112
        .size:           4
        .value_kind:     hidden_block_count_x
      - .offset:         116
        .size:           4
        .value_kind:     hidden_block_count_y
      - .offset:         120
        .size:           4
        .value_kind:     hidden_block_count_z
      - .offset:         124
        .size:           2
        .value_kind:     hidden_group_size_x
      - .offset:         126
        .size:           2
        .value_kind:     hidden_group_size_y
      - .offset:         128
        .size:           2
        .value_kind:     hidden_group_size_z
      - .offset:         130
        .size:           2
        .value_kind:     hidden_remainder_x
      - .offset:         132
        .size:           2
        .value_kind:     hidden_remainder_y
      - .offset:         134
        .size:           2
        .value_kind:     hidden_remainder_z
      - .offset:         152
        .size:           8
        .value_kind:     hidden_global_offset_x
      - .offset:         160
        .size:           8
        .value_kind:     hidden_global_offset_y
      - .offset:         168
        .size:           8
        .value_kind:     hidden_global_offset_z
      - .offset:         176
        .size:           2
        .value_kind:     hidden_grid_dims
    .group_segment_fixed_size: 0
    .kernarg_segment_align: 8
    .kernarg_segment_size: 368
    .language:       OpenCL C
    .language_version:
      - 2
      - 0
    .max_flat_workgroup_size: 1024
    .name:           _ZN2at6native12_GLOBAL__N_140max_pool3d_with_indices_single_out_frameIN3c104HalfEEEvPKT_PS5_Pliiiiiiiiiiiiiiiiiiiiib
    .private_segment_fixed_size: 0
    .sgpr_count:     46
    .sgpr_spill_count: 0
    .symbol:         _ZN2at6native12_GLOBAL__N_140max_pool3d_with_indices_single_out_frameIN3c104HalfEEEvPKT_PS5_Pliiiiiiiiiiiiiiiiiiiiib.kd
    .uniform_work_group_size: 1
    .uses_dynamic_stack: false
    .vgpr_count:     35
    .vgpr_spill_count: 0
    .wavefront_size: 32
  - .args:
      - .address_space:  global
        .offset:         0
        .size:           8
        .value_kind:     global_buffer
      - .address_space:  global
        .offset:         8
        .size:           8
        .value_kind:     global_buffer
      - .address_space:  global
        .offset:         16
        .size:           8
        .value_kind:     global_buffer
      - .offset:         24
        .size:           4
        .value_kind:     by_value
      - .offset:         28
        .size:           4
        .value_kind:     by_value
      - .offset:         32
        .size:           4
        .value_kind:     by_value
      - .offset:         36
        .size:           4
        .value_kind:     by_value
      - .offset:         40
        .size:           4
        .value_kind:     by_value
      - .offset:         44
        .size:           4
        .value_kind:     by_value
      - .offset:         48
        .size:           4
        .value_kind:     by_value
      - .offset:         52
        .size:           4
        .value_kind:     by_value
      - .offset:         56
        .size:           4
        .value_kind:     by_value
      - .offset:         60
        .size:           4
        .value_kind:     by_value
      - .offset:         64
        .size:           4
        .value_kind:     by_value
      - .offset:         68
        .size:           4
        .value_kind:     by_value
      - .offset:         72
        .size:           4
        .value_kind:     by_value
      - .offset:         76
        .size:           4
        .value_kind:     by_value
      - .offset:         80
        .size:           4
        .value_kind:     by_value
      - .offset:         84
        .size:           4
        .value_kind:     by_value
      - .offset:         88
        .size:           4
        .value_kind:     by_value
      - .offset:         92
        .size:           4
        .value_kind:     by_value
      - .offset:         96
        .size:           4
        .value_kind:     by_value
      - .offset:         100
        .size:           4
        .value_kind:     by_value
      - .offset:         104
        .size:           4
        .value_kind:     by_value
      - .offset:         108
        .size:           1
        .value_kind:     by_value
      - .offset:         112
        .size:           4
        .value_kind:     hidden_block_count_x
      - .offset:         116
        .size:           4
        .value_kind:     hidden_block_count_y
      - .offset:         120
        .size:           4
        .value_kind:     hidden_block_count_z
      - .offset:         124
        .size:           2
        .value_kind:     hidden_group_size_x
      - .offset:         126
        .size:           2
        .value_kind:     hidden_group_size_y
      - .offset:         128
        .size:           2
        .value_kind:     hidden_group_size_z
      - .offset:         130
        .size:           2
        .value_kind:     hidden_remainder_x
      - .offset:         132
        .size:           2
        .value_kind:     hidden_remainder_y
      - .offset:         134
        .size:           2
        .value_kind:     hidden_remainder_z
      - .offset:         152
        .size:           8
        .value_kind:     hidden_global_offset_x
      - .offset:         160
        .size:           8
        .value_kind:     hidden_global_offset_y
      - .offset:         168
        .size:           8
        .value_kind:     hidden_global_offset_z
      - .offset:         176
        .size:           2
        .value_kind:     hidden_grid_dims
    .group_segment_fixed_size: 0
    .kernarg_segment_align: 8
    .kernarg_segment_size: 368
    .language:       OpenCL C
    .language_version:
      - 2
      - 0
    .max_flat_workgroup_size: 1024
    .name:           _ZN2at6native12_GLOBAL__N_140max_pool3d_with_indices_single_out_frameIN3c108BFloat16EEEvPKT_PS5_Pliiiiiiiiiiiiiiiiiiiiib
    .private_segment_fixed_size: 0
    .sgpr_count:     46
    .sgpr_spill_count: 0
    .symbol:         _ZN2at6native12_GLOBAL__N_140max_pool3d_with_indices_single_out_frameIN3c108BFloat16EEEvPKT_PS5_Pliiiiiiiiiiiiiiiiiiiiib.kd
    .uniform_work_group_size: 1
    .uses_dynamic_stack: false
    .vgpr_count:     35
    .vgpr_spill_count: 0
    .wavefront_size: 32
  - .args:
      - .address_space:  global
        .offset:         0
        .size:           8
        .value_kind:     global_buffer
      - .address_space:  global
        .offset:         8
        .size:           8
        .value_kind:     global_buffer
      - .address_space:  global
        .offset:         16
        .size:           8
        .value_kind:     global_buffer
      - .offset:         24
        .size:           4
        .value_kind:     by_value
      - .offset:         28
        .size:           4
        .value_kind:     by_value
      - .offset:         32
        .size:           4
        .value_kind:     by_value
      - .offset:         36
        .size:           4
        .value_kind:     by_value
      - .offset:         40
        .size:           4
        .value_kind:     by_value
      - .offset:         44
        .size:           4
        .value_kind:     by_value
      - .offset:         48
        .size:           4
        .value_kind:     by_value
      - .offset:         52
        .size:           4
        .value_kind:     by_value
      - .offset:         56
        .size:           4
        .value_kind:     by_value
      - .offset:         60
        .size:           1
        .value_kind:     by_value
      - .offset:         64
        .size:           4
        .value_kind:     hidden_block_count_x
      - .offset:         68
        .size:           4
        .value_kind:     hidden_block_count_y
      - .offset:         72
        .size:           4
        .value_kind:     hidden_block_count_z
      - .offset:         76
        .size:           2
        .value_kind:     hidden_group_size_x
      - .offset:         78
        .size:           2
        .value_kind:     hidden_group_size_y
      - .offset:         80
        .size:           2
        .value_kind:     hidden_group_size_z
      - .offset:         82
        .size:           2
        .value_kind:     hidden_remainder_x
      - .offset:         84
        .size:           2
        .value_kind:     hidden_remainder_y
      - .offset:         86
        .size:           2
        .value_kind:     hidden_remainder_z
      - .offset:         104
        .size:           8
        .value_kind:     hidden_global_offset_x
      - .offset:         112
        .size:           8
        .value_kind:     hidden_global_offset_y
      - .offset:         120
        .size:           8
        .value_kind:     hidden_global_offset_z
      - .offset:         128
        .size:           2
        .value_kind:     hidden_grid_dims
    .group_segment_fixed_size: 0
    .kernarg_segment_align: 8
    .kernarg_segment_size: 320
    .language:       OpenCL C
    .language_version:
      - 2
      - 0
    .max_flat_workgroup_size: 1024
    .name:           _ZN2at6native12_GLOBAL__N_149max_pool3d_with_indices_backward_single_out_frameIdEEvPT_PKS3_PKliiiiiiiiib
    .private_segment_fixed_size: 0
    .sgpr_count:     33
    .sgpr_spill_count: 0
    .symbol:         _ZN2at6native12_GLOBAL__N_149max_pool3d_with_indices_backward_single_out_frameIdEEvPT_PKS3_PKliiiiiiiiib.kd
    .uniform_work_group_size: 1
    .uses_dynamic_stack: false
    .vgpr_count:     16
    .vgpr_spill_count: 0
    .wavefront_size: 32
  - .args:
      - .address_space:  global
        .offset:         0
        .size:           8
        .value_kind:     global_buffer
      - .address_space:  global
        .offset:         8
        .size:           8
        .value_kind:     global_buffer
      - .address_space:  global
        .offset:         16
        .size:           8
        .value_kind:     global_buffer
      - .offset:         24
        .size:           4
        .value_kind:     by_value
      - .offset:         28
        .size:           4
        .value_kind:     by_value
      - .offset:         32
        .size:           4
        .value_kind:     by_value
      - .offset:         36
        .size:           4
        .value_kind:     by_value
      - .offset:         40
        .size:           4
        .value_kind:     by_value
      - .offset:         44
        .size:           4
        .value_kind:     by_value
      - .offset:         48
        .size:           4
        .value_kind:     by_value
      - .offset:         52
        .size:           4
        .value_kind:     by_value
      - .offset:         56
        .size:           4
        .value_kind:     by_value
      - .offset:         60
        .size:           1
        .value_kind:     by_value
      - .offset:         64
        .size:           4
        .value_kind:     hidden_block_count_x
      - .offset:         68
        .size:           4
        .value_kind:     hidden_block_count_y
      - .offset:         72
        .size:           4
        .value_kind:     hidden_block_count_z
      - .offset:         76
        .size:           2
        .value_kind:     hidden_group_size_x
      - .offset:         78
        .size:           2
        .value_kind:     hidden_group_size_y
      - .offset:         80
        .size:           2
        .value_kind:     hidden_group_size_z
      - .offset:         82
        .size:           2
        .value_kind:     hidden_remainder_x
      - .offset:         84
        .size:           2
        .value_kind:     hidden_remainder_y
      - .offset:         86
        .size:           2
        .value_kind:     hidden_remainder_z
      - .offset:         104
        .size:           8
        .value_kind:     hidden_global_offset_x
      - .offset:         112
        .size:           8
        .value_kind:     hidden_global_offset_y
      - .offset:         120
        .size:           8
        .value_kind:     hidden_global_offset_z
      - .offset:         128
        .size:           2
        .value_kind:     hidden_grid_dims
    .group_segment_fixed_size: 0
    .kernarg_segment_align: 8
    .kernarg_segment_size: 320
    .language:       OpenCL C
    .language_version:
      - 2
      - 0
    .max_flat_workgroup_size: 1024
    .name:           _ZN2at6native12_GLOBAL__N_149max_pool3d_with_indices_backward_single_out_frameIfEEvPT_PKS3_PKliiiiiiiiib
    .private_segment_fixed_size: 0
    .sgpr_count:     33
    .sgpr_spill_count: 0
    .symbol:         _ZN2at6native12_GLOBAL__N_149max_pool3d_with_indices_backward_single_out_frameIfEEvPT_PKS3_PKliiiiiiiiib.kd
    .uniform_work_group_size: 1
    .uses_dynamic_stack: false
    .vgpr_count:     16
    .vgpr_spill_count: 0
    .wavefront_size: 32
  - .args:
      - .address_space:  global
        .offset:         0
        .size:           8
        .value_kind:     global_buffer
      - .address_space:  global
        .offset:         8
        .size:           8
        .value_kind:     global_buffer
      - .address_space:  global
        .offset:         16
        .size:           8
        .value_kind:     global_buffer
      - .offset:         24
        .size:           4
        .value_kind:     by_value
      - .offset:         28
        .size:           4
        .value_kind:     by_value
      - .offset:         32
        .size:           4
        .value_kind:     by_value
      - .offset:         36
        .size:           4
        .value_kind:     by_value
      - .offset:         40
        .size:           4
        .value_kind:     by_value
      - .offset:         44
        .size:           4
        .value_kind:     by_value
      - .offset:         48
        .size:           4
        .value_kind:     by_value
      - .offset:         52
        .size:           4
        .value_kind:     by_value
      - .offset:         56
        .size:           4
        .value_kind:     by_value
      - .offset:         60
        .size:           1
        .value_kind:     by_value
      - .offset:         64
        .size:           4
        .value_kind:     hidden_block_count_x
      - .offset:         68
        .size:           4
        .value_kind:     hidden_block_count_y
      - .offset:         72
        .size:           4
        .value_kind:     hidden_block_count_z
      - .offset:         76
        .size:           2
        .value_kind:     hidden_group_size_x
      - .offset:         78
        .size:           2
        .value_kind:     hidden_group_size_y
      - .offset:         80
        .size:           2
        .value_kind:     hidden_group_size_z
      - .offset:         82
        .size:           2
        .value_kind:     hidden_remainder_x
      - .offset:         84
        .size:           2
        .value_kind:     hidden_remainder_y
      - .offset:         86
        .size:           2
        .value_kind:     hidden_remainder_z
      - .offset:         104
        .size:           8
        .value_kind:     hidden_global_offset_x
      - .offset:         112
        .size:           8
        .value_kind:     hidden_global_offset_y
      - .offset:         120
        .size:           8
        .value_kind:     hidden_global_offset_z
      - .offset:         128
        .size:           2
        .value_kind:     hidden_grid_dims
    .group_segment_fixed_size: 0
    .kernarg_segment_align: 8
    .kernarg_segment_size: 320
    .language:       OpenCL C
    .language_version:
      - 2
      - 0
    .max_flat_workgroup_size: 1024
    .name:           _ZN2at6native12_GLOBAL__N_149max_pool3d_with_indices_backward_single_out_frameIN3c104HalfEEEvPT_PKS5_PKliiiiiiiiib
    .private_segment_fixed_size: 0
    .sgpr_count:     33
    .sgpr_spill_count: 0
    .symbol:         _ZN2at6native12_GLOBAL__N_149max_pool3d_with_indices_backward_single_out_frameIN3c104HalfEEEvPT_PKS5_PKliiiiiiiiib.kd
    .uniform_work_group_size: 1
    .uses_dynamic_stack: false
    .vgpr_count:     16
    .vgpr_spill_count: 0
    .wavefront_size: 32
  - .args:
      - .address_space:  global
        .offset:         0
        .size:           8
        .value_kind:     global_buffer
      - .address_space:  global
        .offset:         8
        .size:           8
        .value_kind:     global_buffer
      - .address_space:  global
        .offset:         16
        .size:           8
        .value_kind:     global_buffer
      - .offset:         24
        .size:           4
        .value_kind:     by_value
      - .offset:         28
        .size:           4
        .value_kind:     by_value
      - .offset:         32
        .size:           4
        .value_kind:     by_value
      - .offset:         36
        .size:           4
        .value_kind:     by_value
      - .offset:         40
        .size:           4
        .value_kind:     by_value
      - .offset:         44
        .size:           4
        .value_kind:     by_value
      - .offset:         48
        .size:           4
        .value_kind:     by_value
      - .offset:         52
        .size:           4
        .value_kind:     by_value
      - .offset:         56
        .size:           4
        .value_kind:     by_value
      - .offset:         60
        .size:           1
        .value_kind:     by_value
      - .offset:         64
        .size:           4
        .value_kind:     hidden_block_count_x
      - .offset:         68
        .size:           4
        .value_kind:     hidden_block_count_y
      - .offset:         72
        .size:           4
        .value_kind:     hidden_block_count_z
      - .offset:         76
        .size:           2
        .value_kind:     hidden_group_size_x
      - .offset:         78
        .size:           2
        .value_kind:     hidden_group_size_y
      - .offset:         80
        .size:           2
        .value_kind:     hidden_group_size_z
      - .offset:         82
        .size:           2
        .value_kind:     hidden_remainder_x
      - .offset:         84
        .size:           2
        .value_kind:     hidden_remainder_y
      - .offset:         86
        .size:           2
        .value_kind:     hidden_remainder_z
      - .offset:         104
        .size:           8
        .value_kind:     hidden_global_offset_x
      - .offset:         112
        .size:           8
        .value_kind:     hidden_global_offset_y
      - .offset:         120
        .size:           8
        .value_kind:     hidden_global_offset_z
      - .offset:         128
        .size:           2
        .value_kind:     hidden_grid_dims
    .group_segment_fixed_size: 0
    .kernarg_segment_align: 8
    .kernarg_segment_size: 320
    .language:       OpenCL C
    .language_version:
      - 2
      - 0
    .max_flat_workgroup_size: 1024
    .name:           _ZN2at6native12_GLOBAL__N_149max_pool3d_with_indices_backward_single_out_frameIN3c108BFloat16EEEvPT_PKS5_PKliiiiiiiiib
    .private_segment_fixed_size: 0
    .sgpr_count:     33
    .sgpr_spill_count: 0
    .symbol:         _ZN2at6native12_GLOBAL__N_149max_pool3d_with_indices_backward_single_out_frameIN3c108BFloat16EEEvPT_PKS5_PKliiiiiiiiib.kd
    .uniform_work_group_size: 1
    .uses_dynamic_stack: false
    .vgpr_count:     16
    .vgpr_spill_count: 0
    .wavefront_size: 32
amdhsa.target:   amdgcn-amd-amdhsa--gfx1250
amdhsa.version:
  - 1
  - 2
...

	.end_amdgpu_metadata
